;; amdgpu-corpus repo=ROCm/rocFFT kind=compiled arch=gfx950 opt=O3
	.text
	.amdgcn_target "amdgcn-amd-amdhsa--gfx950"
	.amdhsa_code_object_version 6
	.protected	fft_rtc_back_len2002_factors_2_13_7_11_wgs_182_tpt_182_halfLds_sp_ip_CI_unitstride_sbrr_C2R_dirReg ; -- Begin function fft_rtc_back_len2002_factors_2_13_7_11_wgs_182_tpt_182_halfLds_sp_ip_CI_unitstride_sbrr_C2R_dirReg
	.globl	fft_rtc_back_len2002_factors_2_13_7_11_wgs_182_tpt_182_halfLds_sp_ip_CI_unitstride_sbrr_C2R_dirReg
	.p2align	8
	.type	fft_rtc_back_len2002_factors_2_13_7_11_wgs_182_tpt_182_halfLds_sp_ip_CI_unitstride_sbrr_C2R_dirReg,@function
fft_rtc_back_len2002_factors_2_13_7_11_wgs_182_tpt_182_halfLds_sp_ip_CI_unitstride_sbrr_C2R_dirReg: ; @fft_rtc_back_len2002_factors_2_13_7_11_wgs_182_tpt_182_halfLds_sp_ip_CI_unitstride_sbrr_C2R_dirReg
; %bb.0:
	s_load_dwordx2 s[8:9], s[0:1], 0x50
	s_load_dwordx4 s[4:7], s[0:1], 0x0
	s_load_dwordx2 s[10:11], s[0:1], 0x18
	v_mul_u32_u24_e32 v1, 0x169, v0
	v_add_u32_sdwa v6, s2, v1 dst_sel:DWORD dst_unused:UNUSED_PAD src0_sel:DWORD src1_sel:WORD_1
	v_mov_b32_e32 v4, 0
	s_waitcnt lgkmcnt(0)
	v_cmp_lt_u64_e64 s[2:3], s[6:7], 2
	v_mov_b32_e32 v7, v4
	s_and_b64 vcc, exec, s[2:3]
	v_mov_b64_e32 v[2:3], 0
	s_cbranch_vccnz .LBB0_8
; %bb.1:
	s_load_dwordx2 s[2:3], s[0:1], 0x10
	s_add_u32 s12, s10, 8
	s_addc_u32 s13, s11, 0
	s_mov_b64 s[14:15], 1
	v_mov_b64_e32 v[2:3], 0
	s_waitcnt lgkmcnt(0)
	s_add_u32 s16, s2, 8
	s_addc_u32 s17, s3, 0
.LBB0_2:                                ; =>This Inner Loop Header: Depth=1
	s_load_dwordx2 s[18:19], s[16:17], 0x0
                                        ; implicit-def: $vgpr8_vgpr9
	s_waitcnt lgkmcnt(0)
	v_or_b32_e32 v5, s19, v7
	v_cmp_ne_u64_e32 vcc, 0, v[4:5]
	s_and_saveexec_b64 s[2:3], vcc
	s_xor_b64 s[20:21], exec, s[2:3]
	s_cbranch_execz .LBB0_4
; %bb.3:                                ;   in Loop: Header=BB0_2 Depth=1
	v_cvt_f32_u32_e32 v1, s18
	v_cvt_f32_u32_e32 v5, s19
	s_sub_u32 s2, 0, s18
	s_subb_u32 s3, 0, s19
	v_fmac_f32_e32 v1, 0x4f800000, v5
	v_rcp_f32_e32 v1, v1
	s_nop 0
	v_mul_f32_e32 v1, 0x5f7ffffc, v1
	v_mul_f32_e32 v5, 0x2f800000, v1
	v_trunc_f32_e32 v5, v5
	v_fmac_f32_e32 v1, 0xcf800000, v5
	v_cvt_u32_f32_e32 v5, v5
	v_cvt_u32_f32_e32 v1, v1
	v_mul_lo_u32 v8, s2, v5
	v_mul_hi_u32 v10, s2, v1
	v_mul_lo_u32 v9, s3, v1
	v_add_u32_e32 v10, v10, v8
	v_mul_lo_u32 v12, s2, v1
	v_add_u32_e32 v13, v10, v9
	v_mul_hi_u32 v8, v1, v12
	v_mul_hi_u32 v11, v1, v13
	v_mul_lo_u32 v10, v1, v13
	v_mov_b32_e32 v9, v4
	v_lshl_add_u64 v[8:9], v[8:9], 0, v[10:11]
	v_mul_hi_u32 v11, v5, v12
	v_mul_lo_u32 v12, v5, v12
	v_add_co_u32_e32 v8, vcc, v8, v12
	v_mul_hi_u32 v10, v5, v13
	s_nop 0
	v_addc_co_u32_e32 v8, vcc, v9, v11, vcc
	v_mov_b32_e32 v9, v4
	s_nop 0
	v_addc_co_u32_e32 v11, vcc, 0, v10, vcc
	v_mul_lo_u32 v10, v5, v13
	v_lshl_add_u64 v[8:9], v[8:9], 0, v[10:11]
	v_add_co_u32_e32 v1, vcc, v1, v8
	v_mul_lo_u32 v10, s2, v1
	s_nop 0
	v_addc_co_u32_e32 v5, vcc, v5, v9, vcc
	v_mul_lo_u32 v8, s2, v5
	v_mul_hi_u32 v9, s2, v1
	v_add_u32_e32 v8, v9, v8
	v_mul_lo_u32 v9, s3, v1
	v_add_u32_e32 v12, v8, v9
	v_mul_hi_u32 v14, v5, v10
	v_mul_lo_u32 v15, v5, v10
	v_mul_hi_u32 v9, v1, v12
	v_mul_lo_u32 v8, v1, v12
	v_mul_hi_u32 v10, v1, v10
	v_mov_b32_e32 v11, v4
	v_lshl_add_u64 v[8:9], v[10:11], 0, v[8:9]
	v_add_co_u32_e32 v8, vcc, v8, v15
	v_mul_hi_u32 v13, v5, v12
	s_nop 0
	v_addc_co_u32_e32 v8, vcc, v9, v14, vcc
	v_mul_lo_u32 v10, v5, v12
	s_nop 0
	v_addc_co_u32_e32 v11, vcc, 0, v13, vcc
	v_mov_b32_e32 v9, v4
	v_lshl_add_u64 v[8:9], v[8:9], 0, v[10:11]
	v_add_co_u32_e32 v1, vcc, v1, v8
	v_mul_hi_u32 v10, v6, v1
	s_nop 0
	v_addc_co_u32_e32 v5, vcc, v5, v9, vcc
	v_mad_u64_u32 v[8:9], s[2:3], v6, v5, 0
	v_mov_b32_e32 v11, v4
	v_lshl_add_u64 v[8:9], v[10:11], 0, v[8:9]
	v_mad_u64_u32 v[12:13], s[2:3], v7, v1, 0
	v_add_co_u32_e32 v1, vcc, v8, v12
	v_mad_u64_u32 v[10:11], s[2:3], v7, v5, 0
	s_nop 0
	v_addc_co_u32_e32 v8, vcc, v9, v13, vcc
	v_mov_b32_e32 v9, v4
	s_nop 0
	v_addc_co_u32_e32 v11, vcc, 0, v11, vcc
	v_lshl_add_u64 v[8:9], v[8:9], 0, v[10:11]
	v_mul_lo_u32 v1, s19, v8
	v_mul_lo_u32 v5, s18, v9
	v_mad_u64_u32 v[10:11], s[2:3], s18, v8, 0
	v_add3_u32 v1, v11, v5, v1
	v_sub_u32_e32 v5, v7, v1
	v_mov_b32_e32 v11, s19
	v_sub_co_u32_e32 v14, vcc, v6, v10
	v_lshl_add_u64 v[12:13], v[8:9], 0, 1
	s_nop 0
	v_subb_co_u32_e64 v5, s[2:3], v5, v11, vcc
	v_subrev_co_u32_e64 v10, s[2:3], s18, v14
	v_subb_co_u32_e32 v1, vcc, v7, v1, vcc
	s_nop 0
	v_subbrev_co_u32_e64 v5, s[2:3], 0, v5, s[2:3]
	v_cmp_le_u32_e64 s[2:3], s19, v5
	v_cmp_le_u32_e32 vcc, s19, v1
	s_nop 0
	v_cndmask_b32_e64 v11, 0, -1, s[2:3]
	v_cmp_le_u32_e64 s[2:3], s18, v10
	s_nop 1
	v_cndmask_b32_e64 v10, 0, -1, s[2:3]
	v_cmp_eq_u32_e64 s[2:3], s19, v5
	s_nop 1
	v_cndmask_b32_e64 v5, v11, v10, s[2:3]
	v_lshl_add_u64 v[10:11], v[8:9], 0, 2
	v_cmp_ne_u32_e64 s[2:3], 0, v5
	s_nop 1
	v_cndmask_b32_e64 v5, v13, v11, s[2:3]
	v_cndmask_b32_e64 v11, 0, -1, vcc
	v_cmp_le_u32_e32 vcc, s18, v14
	s_nop 1
	v_cndmask_b32_e64 v13, 0, -1, vcc
	v_cmp_eq_u32_e32 vcc, s19, v1
	s_nop 1
	v_cndmask_b32_e32 v1, v11, v13, vcc
	v_cmp_ne_u32_e32 vcc, 0, v1
	v_cndmask_b32_e64 v1, v12, v10, s[2:3]
	s_nop 0
	v_cndmask_b32_e32 v9, v9, v5, vcc
	v_cndmask_b32_e32 v8, v8, v1, vcc
.LBB0_4:                                ;   in Loop: Header=BB0_2 Depth=1
	s_andn2_saveexec_b64 s[2:3], s[20:21]
	s_cbranch_execz .LBB0_6
; %bb.5:                                ;   in Loop: Header=BB0_2 Depth=1
	v_cvt_f32_u32_e32 v1, s18
	s_sub_i32 s20, 0, s18
	v_rcp_iflag_f32_e32 v1, v1
	s_nop 0
	v_mul_f32_e32 v1, 0x4f7ffffe, v1
	v_cvt_u32_f32_e32 v1, v1
	v_mul_lo_u32 v5, s20, v1
	v_mul_hi_u32 v5, v1, v5
	v_add_u32_e32 v1, v1, v5
	v_mul_hi_u32 v1, v6, v1
	v_mul_lo_u32 v5, v1, s18
	v_sub_u32_e32 v5, v6, v5
	v_add_u32_e32 v8, 1, v1
	v_subrev_u32_e32 v9, s18, v5
	v_cmp_le_u32_e32 vcc, s18, v5
	s_nop 1
	v_cndmask_b32_e32 v5, v5, v9, vcc
	v_cndmask_b32_e32 v1, v1, v8, vcc
	v_add_u32_e32 v8, 1, v1
	v_cmp_le_u32_e32 vcc, s18, v5
	v_mov_b32_e32 v9, v4
	s_nop 0
	v_cndmask_b32_e32 v8, v1, v8, vcc
.LBB0_6:                                ;   in Loop: Header=BB0_2 Depth=1
	s_or_b64 exec, exec, s[2:3]
	v_mad_u64_u32 v[10:11], s[2:3], v8, s18, 0
	s_load_dwordx2 s[2:3], s[12:13], 0x0
	v_mul_lo_u32 v1, v9, s18
	v_mul_lo_u32 v5, v8, s19
	v_add3_u32 v1, v11, v5, v1
	v_sub_co_u32_e32 v5, vcc, v6, v10
	s_add_u32 s14, s14, 1
	s_nop 0
	v_subb_co_u32_e32 v1, vcc, v7, v1, vcc
	s_addc_u32 s15, s15, 0
	s_waitcnt lgkmcnt(0)
	v_mul_lo_u32 v1, s2, v1
	v_mul_lo_u32 v6, s3, v5
	v_mad_u64_u32 v[2:3], s[2:3], s2, v5, v[2:3]
	s_add_u32 s12, s12, 8
	v_add3_u32 v3, v6, v3, v1
	s_addc_u32 s13, s13, 0
	v_mov_b64_e32 v[6:7], s[6:7]
	s_add_u32 s16, s16, 8
	v_cmp_ge_u64_e32 vcc, s[14:15], v[6:7]
	s_addc_u32 s17, s17, 0
	s_cbranch_vccnz .LBB0_9
; %bb.7:                                ;   in Loop: Header=BB0_2 Depth=1
	v_mov_b64_e32 v[6:7], v[8:9]
	s_branch .LBB0_2
.LBB0_8:
	v_mov_b64_e32 v[8:9], v[6:7]
.LBB0_9:
	s_lshl_b64 s[2:3], s[6:7], 3
	s_add_u32 s2, s10, s2
	s_addc_u32 s3, s11, s3
	s_load_dwordx2 s[6:7], s[2:3], 0x0
	s_load_dwordx2 s[10:11], s[0:1], 0x20
	s_mov_b32 s2, 0x1681682
	s_waitcnt lgkmcnt(0)
	v_mul_lo_u32 v1, s6, v9
	v_mul_lo_u32 v4, s7, v8
	v_mad_u64_u32 v[2:3], s[0:1], s6, v8, v[2:3]
	v_add3_u32 v3, v4, v3, v1
	v_mul_hi_u32 v1, v0, s2
	v_mul_u32_u24_e32 v1, 0xb6, v1
	v_cmp_gt_u64_e64 s[0:1], s[10:11], v[8:9]
	v_sub_u32_e32 v24, v0, v1
	v_lshl_add_u64 v[26:27], v[2:3], 3, s[8:9]
	s_and_saveexec_b64 s[2:3], s[0:1]
	s_cbranch_execz .LBB0_13
; %bb.10:
	v_mov_b32_e32 v25, 0
	v_lshl_add_u64 v[0:1], v[24:25], 3, v[26:27]
	v_add_co_u32_e32 v2, vcc, 0x1000, v0
	s_movk_i32 s6, 0xb5
	s_nop 0
	v_addc_co_u32_e32 v3, vcc, 0, v1, vcc
	v_add_co_u32_e32 v12, vcc, 0x2000, v0
	global_load_dwordx2 v[4:5], v[0:1], off
	global_load_dwordx2 v[6:7], v[0:1], off offset:1456
	global_load_dwordx2 v[8:9], v[0:1], off offset:2912
	global_load_dwordx2 v[10:11], v[2:3], off offset:272
	v_addc_co_u32_e32 v13, vcc, 0, v1, vcc
	v_add_co_u32_e32 v0, vcc, 0x3000, v0
	global_load_dwordx2 v[14:15], v[2:3], off offset:1728
	global_load_dwordx2 v[16:17], v[2:3], off offset:3184
	;; [unrolled: 1-line block ×4, first 2 shown]
	v_addc_co_u32_e32 v1, vcc, 0, v1, vcc
	global_load_dwordx2 v[2:3], v[12:13], off offset:3456
	global_load_dwordx2 v[22:23], v[0:1], off offset:816
	;; [unrolled: 1-line block ×3, first 2 shown]
	v_lshl_add_u32 v0, v24, 3, 0
	v_cmp_eq_u32_e32 vcc, s6, v24
	v_add_u32_e32 v1, 0xa00, v0
	v_add_u32_e32 v12, 0x1600, v0
	;; [unrolled: 1-line block ×4, first 2 shown]
	s_waitcnt vmcnt(9)
	ds_write2_b64 v0, v[4:5], v[6:7] offset1:182
	s_waitcnt vmcnt(7)
	ds_write2_b64 v1, v[8:9], v[10:11] offset0:44 offset1:226
	s_waitcnt vmcnt(5)
	ds_write2_b64 v12, v[14:15], v[16:17] offset0:24 offset1:206
	;; [unrolled: 2-line block ×4, first 2 shown]
	s_waitcnt vmcnt(0)
	ds_write_b64 v0, v[28:29] offset:14560
	s_and_saveexec_b64 s[6:7], vcc
	s_cbranch_execz .LBB0_12
; %bb.11:
	v_add_co_u32_e32 v0, vcc, 0x3000, v26
	v_mov_b32_e32 v24, 0xb5
	s_nop 0
	v_addc_co_u32_e32 v1, vcc, 0, v27, vcc
	global_load_dwordx2 v[0:1], v[0:1], off offset:3728
	s_waitcnt vmcnt(0)
	ds_write_b64 v25, v[0:1] offset:16016
.LBB0_12:
	s_or_b64 exec, exec, s[6:7]
.LBB0_13:
	s_or_b64 exec, exec, s[2:3]
	v_lshlrev_b32_e32 v0, 3, v24
	v_add_u32_e32 v29, 0, v0
	s_waitcnt lgkmcnt(0)
	s_barrier
	v_sub_u32_e32 v4, 0, v0
	ds_read_b32 v0, v29
	ds_read_b32 v1, v4 offset:16016
	s_add_u32 s2, s4, 0x3e80
	s_addc_u32 s3, s5, 0
	v_cmp_ne_u32_e32 vcc, 0, v24
	s_waitcnt lgkmcnt(0)
	v_add_f32_e32 v2, v1, v0
	v_sub_f32_e32 v3, v0, v1
                                        ; implicit-def: $vgpr0_vgpr1
	s_and_saveexec_b64 s[6:7], vcc
	s_xor_b64 s[6:7], exec, s[6:7]
	s_cbranch_execz .LBB0_15
; %bb.14:
	v_mov_b32_e32 v25, 0
	v_lshl_add_u64 v[0:1], v[24:25], 3, s[2:3]
	global_load_dwordx2 v[6:7], v[0:1], off
	ds_read_b32 v5, v4 offset:16020
	ds_read_b32 v11, v29 offset:4
	v_mov_b32_e32 v8, v3
	v_mov_b32_e32 v10, v2
	;; [unrolled: 1-line block ×3, first 2 shown]
	v_mov_b64_e32 v[0:1], v[24:25]
	s_waitcnt lgkmcnt(0)
	v_add_f32_e32 v9, v5, v11
	v_sub_f32_e32 v11, v11, v5
	v_mov_b32_e32 v12, v9
	s_waitcnt vmcnt(0)
	v_pk_mul_f32 v[14:15], v[8:9], v[6:7] op_sel:[0,1]
	v_pk_fma_f32 v[8:9], v[8:9], v[6:7], v[10:11] op_sel:[0,1,0]
	v_mov_b32_e32 v3, v15
	v_mov_b32_e32 v15, v11
	v_pk_fma_f32 v[16:17], v[6:7], v[12:13], v[8:9] neg_lo:[1,0,0] neg_hi:[1,0,0]
	v_pk_fma_f32 v[8:9], v[6:7], v[12:13], v[8:9] op_sel_hi:[0,1,1]
	v_pk_add_f32 v[2:3], v[2:3], v[14:15] neg_lo:[0,1] neg_hi:[0,1]
	v_mov_b32_e32 v17, v9
	v_pk_fma_f32 v[2:3], v[6:7], v[12:13], v[2:3] op_sel_hi:[0,1,1]
	ds_write_b64 v4, v[2:3] offset:16016
	v_mov_b64_e32 v[2:3], v[16:17]
.LBB0_15:
	s_andn2_saveexec_b64 s[6:7], s[6:7]
	s_cbranch_execz .LBB0_17
; %bb.16:
	v_mov_b32_e32 v5, 0
	ds_read_b64 v[0:1], v5 offset:8008
	s_mov_b32 s8, 2.0
	s_mov_b32 s9, -2.0
	s_waitcnt lgkmcnt(0)
	v_pk_mul_f32 v[0:1], v[0:1], s[8:9]
	ds_write_b64 v5, v[0:1] offset:8008
	v_mov_b64_e32 v[0:1], 0
.LBB0_17:
	s_or_b64 exec, exec, s[6:7]
	v_lshl_add_u64 v[0:1], v[0:1], 3, s[2:3]
	global_load_dwordx2 v[6:7], v[0:1], off offset:1456
	global_load_dwordx2 v[8:9], v[0:1], off offset:2912
	s_movk_i32 s2, 0x1000
	v_add_co_u32_e32 v10, vcc, s2, v0
	s_movk_i32 s2, 0x5b
	s_nop 0
	v_addc_co_u32_e32 v11, vcc, 0, v1, vcc
	global_load_dwordx2 v[12:13], v[10:11], off offset:272
	global_load_dwordx2 v[14:15], v[10:11], off offset:1728
	ds_write_b64 v29, v[2:3]
	ds_read_b64 v[2:3], v4 offset:14560
	ds_read_b64 v[10:11], v29 offset:1456
	v_cmp_gt_u32_e64 s[2:3], s2, v24
	s_waitcnt lgkmcnt(0)
	v_pk_add_f32 v[16:17], v[10:11], v[2:3]
	v_pk_add_f32 v[2:3], v[10:11], v[2:3] neg_lo:[0,1] neg_hi:[0,1]
	v_mov_b32_e32 v10, v17
	v_mov_b32_e32 v11, v2
	v_mov_b32_e32 v17, v3
	s_waitcnt vmcnt(3)
	v_pk_mul_f32 v[18:19], v[10:11], v[6:7] op_sel:[0,1]
	s_nop 0
	v_pk_add_f32 v[20:21], v[16:17], v[18:19] op_sel:[0,1] op_sel_hi:[1,0]
	v_mov_b32_e32 v17, v18
	v_mov_b32_e32 v2, v19
	v_pk_fma_f32 v[18:19], v[6:7], v[10:11], v[20:21] neg_lo:[1,0,0] neg_hi:[1,0,0]
	v_pk_fma_f32 v[20:21], v[6:7], v[10:11], v[20:21] op_sel_hi:[0,1,1]
	v_pk_add_f32 v[2:3], v[16:17], v[2:3] neg_lo:[0,1] neg_hi:[0,1]
	v_mov_b32_e32 v19, v21
	v_pk_fma_f32 v[2:3], v[6:7], v[10:11], v[2:3] op_sel_hi:[0,1,1]
	ds_write_b64 v29, v[18:19] offset:1456
	ds_write_b64 v4, v[2:3] offset:14560
	ds_read_b64 v[2:3], v4 offset:13104
	ds_read_b64 v[6:7], v29 offset:2912
	s_waitcnt lgkmcnt(0)
	v_pk_add_f32 v[10:11], v[6:7], v[2:3]
	v_pk_add_f32 v[2:3], v[6:7], v[2:3] neg_lo:[0,1] neg_hi:[0,1]
	v_mov_b32_e32 v6, v11
	v_mov_b32_e32 v7, v2
	v_mov_b32_e32 v11, v3
	s_waitcnt vmcnt(2)
	v_pk_mul_f32 v[16:17], v[6:7], v[8:9] op_sel:[0,1]
	s_nop 0
	v_pk_add_f32 v[18:19], v[10:11], v[16:17] op_sel:[0,1] op_sel_hi:[1,0]
	v_mov_b32_e32 v11, v16
	v_mov_b32_e32 v2, v17
	v_pk_fma_f32 v[16:17], v[8:9], v[6:7], v[18:19] neg_lo:[1,0,0] neg_hi:[1,0,0]
	v_pk_fma_f32 v[18:19], v[8:9], v[6:7], v[18:19] op_sel_hi:[0,1,1]
	v_pk_add_f32 v[2:3], v[10:11], v[2:3] neg_lo:[0,1] neg_hi:[0,1]
	v_mov_b32_e32 v17, v19
	v_pk_fma_f32 v[2:3], v[8:9], v[6:7], v[2:3] op_sel_hi:[0,1,1]
	ds_write_b64 v29, v[16:17] offset:2912
	ds_write_b64 v4, v[2:3] offset:13104
	ds_read_b64 v[2:3], v4 offset:11648
	ds_read_b64 v[6:7], v29 offset:4368
	;; [unrolled: 21-line block ×3, first 2 shown]
	s_waitcnt lgkmcnt(0)
	v_pk_add_f32 v[8:9], v[6:7], v[2:3]
	v_pk_add_f32 v[2:3], v[6:7], v[2:3] neg_lo:[0,1] neg_hi:[0,1]
	v_mov_b32_e32 v6, v9
	v_mov_b32_e32 v7, v2
	;; [unrolled: 1-line block ×3, first 2 shown]
	s_waitcnt vmcnt(0)
	v_pk_mul_f32 v[10:11], v[6:7], v[14:15] op_sel:[0,1]
	s_nop 0
	v_pk_add_f32 v[12:13], v[8:9], v[10:11] op_sel:[0,1] op_sel_hi:[1,0]
	v_mov_b32_e32 v9, v10
	v_mov_b32_e32 v2, v11
	v_pk_fma_f32 v[10:11], v[14:15], v[6:7], v[12:13] neg_lo:[1,0,0] neg_hi:[1,0,0]
	v_pk_fma_f32 v[12:13], v[14:15], v[6:7], v[12:13] op_sel_hi:[0,1,1]
	v_pk_add_f32 v[2:3], v[8:9], v[2:3] neg_lo:[0,1] neg_hi:[0,1]
	v_mov_b32_e32 v11, v13
	v_pk_fma_f32 v[2:3], v[14:15], v[6:7], v[2:3] op_sel_hi:[0,1,1]
	ds_write_b64 v29, v[10:11] offset:5824
	ds_write_b64 v4, v[2:3] offset:10192
	s_and_saveexec_b64 s[6:7], s[2:3]
	s_cbranch_execz .LBB0_19
; %bb.18:
	v_add_co_u32_e32 v0, vcc, 0x1000, v0
	s_nop 1
	v_addc_co_u32_e32 v1, vcc, 0, v1, vcc
	global_load_dwordx2 v[0:1], v[0:1], off offset:3184
	ds_read_b64 v[2:3], v4 offset:8736
	ds_read_b64 v[6:7], v29 offset:7280
	s_waitcnt lgkmcnt(0)
	v_pk_add_f32 v[8:9], v[6:7], v[2:3]
	v_pk_add_f32 v[2:3], v[6:7], v[2:3] neg_lo:[0,1] neg_hi:[0,1]
	v_mov_b32_e32 v6, v9
	v_mov_b32_e32 v7, v2
	;; [unrolled: 1-line block ×3, first 2 shown]
	s_waitcnt vmcnt(0)
	v_pk_mul_f32 v[10:11], v[6:7], v[0:1] op_sel:[0,1]
	s_nop 0
	v_pk_add_f32 v[12:13], v[8:9], v[10:11] op_sel:[0,1] op_sel_hi:[1,0]
	v_mov_b32_e32 v9, v10
	v_mov_b32_e32 v2, v11
	v_pk_fma_f32 v[10:11], v[0:1], v[6:7], v[12:13] neg_lo:[1,0,0] neg_hi:[1,0,0]
	v_pk_fma_f32 v[12:13], v[0:1], v[6:7], v[12:13] op_sel_hi:[0,1,1]
	v_pk_add_f32 v[2:3], v[8:9], v[2:3] neg_lo:[0,1] neg_hi:[0,1]
	v_mov_b32_e32 v11, v13
	v_pk_fma_f32 v[0:1], v[0:1], v[6:7], v[2:3] op_sel_hi:[0,1,1]
	ds_write_b64 v29, v[10:11] offset:7280
	ds_write_b64 v4, v[0:1] offset:8736
.LBB0_19:
	s_or_b64 exec, exec, s[6:7]
	v_add_u32_e32 v0, 0x1e00, v29
	s_waitcnt lgkmcnt(0)
	s_barrier
	s_barrier
	ds_read2_b64 v[14:17], v0 offset0:41 offset1:223
	v_add_u32_e32 v0, 0x1600, v29
	ds_read2_b64 v[10:13], v29 offset1:182
	ds_read2_b64 v[18:21], v0 offset0:24 offset1:206
	v_add_u32_e32 v0, 0x3400, v29
	ds_read2_b64 v[6:9], v0 offset0:65 offset1:247
	v_lshl_add_u32 v28, v24, 4, 0
	s_waitcnt lgkmcnt(2)
	v_pk_add_f32 v[2:3], v[10:11], v[14:15] neg_lo:[0,1] neg_hi:[0,1]
	v_add_u32_e32 v14, 0xa00, v29
	v_pk_fma_f32 v[0:1], v[10:11], 2.0, v[2:3] op_sel_hi:[1,0,1] neg_lo:[0,0,1] neg_hi:[0,0,1]
	s_waitcnt lgkmcnt(0)
	v_pk_add_f32 v[6:7], v[18:19], v[6:7] neg_lo:[0,1] neg_hi:[0,1]
	v_pk_add_f32 v[10:11], v[20:21], v[8:9] neg_lo:[0,1] neg_hi:[0,1]
	ds_read2_b64 v[30:33], v14 offset0:44 offset1:226
	v_add_u32_e32 v14, 0x2a00, v29
	v_pk_fma_f32 v[4:5], v[18:19], 2.0, v[6:7] op_sel_hi:[1,0,1] neg_lo:[0,0,1] neg_hi:[0,0,1]
	v_pk_fma_f32 v[8:9], v[20:21], 2.0, v[10:11] op_sel_hi:[1,0,1] neg_lo:[0,0,1] neg_hi:[0,0,1]
	ds_read2_b64 v[18:21], v14 offset0:21 offset1:203
	v_add_u32_e32 v25, 0xb6, v24
	v_lshl_add_u32 v34, v24, 3, v29
	v_pk_add_f32 v[14:15], v[12:13], v[16:17] neg_lo:[0,1] neg_hi:[0,1]
	v_lshl_add_u32 v35, v25, 4, 0
	s_waitcnt lgkmcnt(0)
	v_pk_add_f32 v[18:19], v[30:31], v[18:19] neg_lo:[0,1] neg_hi:[0,1]
	v_pk_add_f32 v[22:23], v[32:33], v[20:21] neg_lo:[0,1] neg_hi:[0,1]
	v_pk_fma_f32 v[16:17], v[30:31], 2.0, v[18:19] op_sel_hi:[1,0,1] neg_lo:[0,0,1] neg_hi:[0,0,1]
	v_add_u32_e32 v30, 0x2220, v28
	v_pk_fma_f32 v[12:13], v[12:13], 2.0, v[14:15] op_sel_hi:[1,0,1] neg_lo:[0,0,1] neg_hi:[0,0,1]
	v_add_u32_e32 v36, 0x16c0, v28
	v_pk_fma_f32 v[20:21], v[32:33], 2.0, v[22:23] op_sel_hi:[1,0,1] neg_lo:[0,0,1] neg_hi:[0,0,1]
	s_barrier
	ds_write2_b64 v34, v[0:1], v[2:3] offset1:1
	ds_write2_b64 v35, v[12:13], v[14:15] offset1:1
	;; [unrolled: 1-line block ×4, first 2 shown]
	v_add_u32_e32 v30, 0x2d80, v28
	ds_write2_b64 v30, v[4:5], v[6:7] offset1:1
	s_and_saveexec_b64 s[6:7], s[2:3]
	s_cbranch_execz .LBB0_21
; %bb.20:
	v_add_u32_e32 v28, 0x38e0, v28
	ds_write2_b64 v28, v[8:9], v[10:11] offset1:1
.LBB0_21:
	s_or_b64 exec, exec, s[6:7]
	s_movk_i32 s2, 0x99
	v_cmp_lt_u32_e32 vcc, s2, v24
	s_movk_i32 s2, 0x9a
	v_cmp_gt_u32_e64 s[2:3], s2, v24
	s_waitcnt lgkmcnt(0)
	s_barrier
	s_waitcnt lgkmcnt(0)
                                        ; implicit-def: $vgpr40
                                        ; implicit-def: $vgpr30
	s_and_saveexec_b64 s[6:7], s[2:3]
	s_cbranch_execz .LBB0_23
; %bb.22:
	v_add_u32_e32 v4, 0x800, v29
	ds_read2_b64 v[12:15], v4 offset0:52 offset1:206
	v_add_u32_e32 v4, 0x1200, v29
	ds_read2_b64 v[16:19], v4 offset0:40 offset1:194
	;; [unrolled: 2-line block ×3, first 2 shown]
	v_add_u32_e32 v4, 0x2400, v29
	v_add_u32_e32 v8, 0x3000, v29
	ds_read2_b64 v[0:3], v29 offset1:154
	ds_read2_b64 v[4:7], v4 offset0:80 offset1:234
	ds_read_b64 v[40:41], v29 offset:14784
	ds_read2_b64 v[8:11], v8 offset0:4 offset1:158
	s_waitcnt lgkmcnt(1)
	v_mov_b32_e32 v30, v41
.LBB0_23:
	s_or_b64 exec, exec, s[6:7]
	v_and_b32_e32 v31, 1, v24
	v_mul_u32_u24_e32 v28, 12, v31
	v_lshlrev_b32_e32 v28, 3, v28
	global_load_dwordx4 v[32:35], v28, s[4:5]
	global_load_dwordx4 v[36:39], v28, s[4:5] offset:16
	global_load_dwordx4 v[42:45], v28, s[4:5] offset:32
	;; [unrolled: 1-line block ×5, first 2 shown]
	v_mov_b32_e32 v56, v19
	v_mov_b32_e32 v58, v21
	;; [unrolled: 1-line block ×4, first 2 shown]
	s_mov_b32 s48, 0x3eedf032
	s_mov_b32 s49, 0x3f62ad3f
	;; [unrolled: 1-line block ×54, first 2 shown]
	s_waitcnt lgkmcnt(0)
	s_barrier
	s_waitcnt vmcnt(5)
	v_mul_f32_e32 v28, v3, v33
	v_mul_f32_e32 v19, v2, v33
	;; [unrolled: 1-line block ×4, first 2 shown]
	s_waitcnt vmcnt(4)
	v_mul_f32_e32 v60, v15, v37
	v_mul_f32_e32 v23, v14, v37
	v_mov_b32_e32 v66, v39
	v_mov_b32_e32 v67, v38
	v_pk_mul_f32 v[16:17], v[16:17], v[38:39] op_sel_hi:[0,1]
	s_waitcnt vmcnt(3)
	v_pk_mul_f32 v[72:73], v[56:57], v[42:43] op_sel_hi:[0,1]
	v_pk_mul_f32 v[58:59], v[58:59], v[44:45] op_sel_hi:[0,1]
	s_waitcnt vmcnt(2)
	v_pk_mul_f32 v[64:65], v[64:65], v[46:47] op_sel_hi:[0,1]
	v_pk_mul_f32 v[74:75], v[4:5], v[48:49] op_sel:[1,0]
	s_waitcnt vmcnt(0)
	v_pk_mul_f32 v[88:89], v[10:11], v[68:69] op_sel:[1,0]
	v_pk_mul_f32 v[86:87], v[8:9], v[52:53] op_sel:[1,0]
	v_pk_mul_f32 v[90:91], v[30:31], v[70:71] op_sel_hi:[0,1]
	v_fmac_f32_e32 v28, v2, v32
	v_fma_f32 v38, v3, v32, -v19
	v_fmac_f32_e32 v62, v12, v34
	v_fma_f32 v30, v13, v34, -v21
	;; [unrolled: 2-line block ×3, first 2 shown]
	v_pk_fma_f32 v[34:35], v[54:55], v[66:67], v[16:17] op_sel_hi:[0,1,1]
	v_pk_fma_f32 v[56:57], v[54:55], v[66:67], v[16:17] op_sel_hi:[0,1,1] neg_lo:[0,0,1] neg_hi:[0,0,1]
	v_pk_fma_f32 v[36:37], v[18:19], v[42:43], v[72:73] op_sel:[0,0,1] op_sel_hi:[0,1,0]
	v_pk_fma_f32 v[66:67], v[18:19], v[42:43], v[72:73] op_sel:[0,0,1] op_sel_hi:[0,1,0] neg_lo:[1,0,0] neg_hi:[1,0,0]
	v_pk_fma_f32 v[18:19], v[20:21], v[44:45], v[58:59] op_sel:[0,0,1] op_sel_hi:[0,1,0]
	v_pk_fma_f32 v[78:79], v[20:21], v[44:45], v[58:59] op_sel:[0,0,1] op_sel_hi:[0,1,0] neg_lo:[1,0,0] neg_hi:[1,0,0]
	v_pk_fma_f32 v[20:21], v[22:23], v[46:47], v[64:65] op_sel:[0,0,1] op_sel_hi:[0,1,0]
	v_pk_fma_f32 v[84:85], v[22:23], v[46:47], v[64:65] op_sel:[0,0,1] op_sel_hi:[0,1,0] neg_lo:[1,0,0] neg_hi:[1,0,0]
	v_pk_fma_f32 v[22:23], v[4:5], v[48:49], v[74:75] op_sel:[0,0,1] op_sel_hi:[0,1,0]
	v_pk_fma_f32 v[82:83], v[4:5], v[48:49], v[74:75] op_sel:[0,0,1] op_sel_hi:[0,1,0] neg_lo:[1,0,0] neg_hi:[1,0,0]
	v_pk_fma_f32 v[74:75], v[10:11], v[68:69], v[88:89] op_sel:[0,0,1] op_sel_hi:[0,1,0] neg_lo:[1,0,0] neg_hi:[1,0,0]
	v_pk_mul_f32 v[76:77], v[6:7], v[50:51] op_sel:[1,0]
	v_pk_fma_f32 v[72:73], v[8:9], v[52:53], v[86:87] op_sel:[0,0,1] op_sel_hi:[0,1,0] neg_lo:[1,0,0] neg_hi:[1,0,0]
	v_pk_fma_f32 v[48:49], v[10:11], v[68:69], v[88:89] op_sel:[0,0,1] op_sel_hi:[0,1,0]
	v_pk_add_f32 v[162:163], v[30:31], v[74:75] op_sel:[0,1] neg_lo:[0,1] neg_hi:[0,1]
	v_pk_add_f32 v[2:3], v[30:31], v[74:75] op_sel:[0,1] op_sel_hi:[0,1]
	v_pk_fma_f32 v[80:81], v[6:7], v[50:51], v[76:77] op_sel:[0,0,1] op_sel_hi:[0,1,0] neg_lo:[1,0,0] neg_hi:[1,0,0]
	v_pk_fma_f32 v[46:47], v[8:9], v[52:53], v[86:87] op_sel:[0,0,1] op_sel_hi:[0,1,0]
	v_pk_fma_f32 v[88:89], v[40:41], v[70:71], v[90:91] op_sel:[0,0,1] op_sel_hi:[0,1,0] neg_lo:[1,0,0] neg_hi:[1,0,0]
	v_pk_add_f32 v[112:113], v[62:63], v[48:49]
	v_pk_add_f32 v[104:105], v[62:63], v[48:49] neg_lo:[0,1] neg_hi:[0,1]
	v_pk_add_f32 v[168:169], v[32:33], v[72:73] op_sel:[0,1] neg_lo:[0,1] neg_hi:[0,1]
	v_pk_add_f32 v[164:165], v[32:33], v[72:73] op_sel:[0,1] op_sel_hi:[0,1]
	v_mov_b32_e32 v163, v3
	v_pk_fma_f32 v[44:45], v[6:7], v[50:51], v[76:77] op_sel:[0,0,1] op_sel_hi:[0,1,0]
	v_pk_fma_f32 v[50:51], v[40:41], v[70:71], v[90:91] op_sel:[0,0,1] op_sel_hi:[0,1,0]
	v_pk_add_f32 v[114:115], v[60:61], v[46:47]
	v_pk_add_f32 v[106:107], v[60:61], v[46:47] neg_lo:[0,1] neg_hi:[0,1]
	v_mov_b32_e32 v113, v104
	v_mov_b32_e32 v169, v165
	;; [unrolled: 1-line block ×4, first 2 shown]
	v_pk_mul_f32 v[4:5], v[162:163], s[48:49]
	v_pk_add_f32 v[174:175], v[56:57], v[80:81] op_sel:[1,1] neg_lo:[0,1] neg_hi:[0,1]
	v_pk_add_f32 v[170:171], v[56:57], v[80:81] op_sel:[1,1]
	v_pk_add_f32 v[184:185], v[38:39], v[88:89] op_sel:[0,1] op_sel_hi:[0,1]
	v_pk_add_f32 v[188:189], v[38:39], v[88:89] op_sel:[0,1] op_sel_hi:[0,1] neg_lo:[0,1] neg_hi:[0,1]
	v_mov_b32_e32 v115, v106
	v_pk_mul_f32 v[58:59], v[6:7], s[2:3]
	v_pk_mul_f32 v[76:77], v[6:7], s[10:11]
	v_pk_fma_f32 v[12:13], v[112:113], s[6:7], v[4:5] neg_lo:[0,0,1] neg_hi:[0,0,1]
	v_pk_fma_f32 v[6:7], v[112:113], s[6:7], v[4:5]
	v_pk_mul_f32 v[8:9], v[168:169], s[50:51]
	v_pk_add_f32 v[142:143], v[34:35], v[44:45]
	v_pk_add_f32 v[136:137], v[34:35], v[44:45] neg_lo:[0,1] neg_hi:[0,1]
	v_mov_b32_e32 v175, v171
	v_pk_add_f32 v[172:173], v[28:29], v[50:51] op_sel_hi:[0,0] neg_lo:[0,1] neg_hi:[0,1]
	v_pk_add_f32 v[166:167], v[28:29], v[50:51] op_sel_hi:[0,0]
	v_mov_b32_e32 v189, v185
	v_mov_b32_e32 v13, v7
	v_pk_fma_f32 v[70:71], v[114:115], s[14:15], v[8:9] neg_lo:[0,0,1] neg_hi:[0,0,1]
	v_pk_fma_f32 v[10:11], v[114:115], s[14:15], v[8:9]
	v_mov_b32_e32 v143, v136
	v_pk_mul_f32 v[14:15], v[174:175], s[18:19]
	v_mov_b32_e32 v167, v173
	v_mul_f32_e32 v7, 0xbeedf032, v188
	v_pk_mul_f32 v[90:91], v[188:189], s[54:55]
	v_mov_b32_e32 v71, v11
	v_pk_fma_f32 v[116:117], v[142:143], s[22:23], v[14:15] neg_lo:[0,0,1] neg_hi:[0,0,1]
	v_pk_fma_f32 v[16:17], v[142:143], s[22:23], v[14:15]
	v_fma_f32 v11, v166, s49, -v7
	v_pk_fma_f32 v[92:93], v[166:167], s[26:27], v[90:91]
	v_pk_fma_f32 v[64:65], v[166:167], s[26:27], v[90:91] neg_lo:[0,0,1] neg_hi:[0,0,1]
	v_mov_b32_e32 v117, v17
	v_add_f32_e32 v17, v0, v11
	v_mov_b32_e32 v65, v93
	v_mul_f32_e32 v11, 0xbf6f5d39, v188
	v_mov_b32_e32 v158, v114
	v_mov_b32_e32 v159, v112
	v_pk_add_f32 v[176:177], v[66:67], v[82:83] op_sel:[1,1] neg_lo:[0,1] neg_hi:[0,1]
	v_pk_add_f32 v[178:179], v[66:67], v[82:83] op_sel:[1,1]
	v_pk_add_f32 v[152:153], v[18:19], v[20:21] op_sel_hi:[0,0]
	v_pk_add_f32 v[160:161], v[18:19], v[20:21] op_sel_hi:[0,0] neg_lo:[0,1] neg_hi:[0,1]
	v_pk_add_f32 v[100:101], v[0:1], v[64:65]
	v_fma_f32 v19, v166, s29, -v11
	v_pk_mul_f32 v[64:65], v[188:189], s[46:47]
	v_pk_mul_f32 v[200:201], v[170:171], s[58:59] op_sel:[1,0]
	s_mov_b32 s58, s30
	s_mov_b32 s59, s13
	v_pk_fma_f32 v[54:55], v[158:159], s[12:13], v[76:77] neg_lo:[0,0,1] neg_hi:[0,0,1]
	v_pk_add_f32 v[146:147], v[36:37], v[22:23]
	v_mov_b32_e32 v40, v176
	v_mov_b32_e32 v41, v174
	v_add_f32_e32 v19, v0, v19
	v_pk_fma_f32 v[96:97], v[166:167], s[36:37], v[64:65] neg_lo:[0,0,1] neg_hi:[0,0,1]
	v_pk_fma_f32 v[68:69], v[166:167], s[36:37], v[64:65]
	v_pk_mul_f32 v[204:205], v[178:179], s[58:59] op_sel:[1,0]
	s_mov_b32 s58, s29
	s_mov_b32 s59, s49
	v_mov_b32_e32 v186, v146
	v_mov_b32_e32 v187, v142
	v_pk_mul_f32 v[94:95], v[40:41], s[20:21]
	v_mov_b32_e32 v97, v69
	v_add_f32_e32 v19, v55, v19
	v_pk_mul_f32 v[128:129], v[168:169], s[40:41]
	s_mov_b32 s40, s2
	s_mov_b32 s41, s8
	v_pk_mul_f32 v[202:203], v[184:185], s[58:59] op_sel:[1,0]
	v_pk_fma_f32 v[120:121], v[186:187], s[30:31], v[94:95] neg_lo:[0,0,1] neg_hi:[0,0,1]
	v_pk_add_f32 v[102:103], v[0:1], v[96:97]
	v_add_f32_e32 v19, v54, v19
	v_pk_mul_f32 v[154:155], v[188:189], s[40:41]
	s_mov_b32 s40, s8
	s_mov_b32 s41, s2
	v_pk_mul_f32 v[198:199], v[2:3], s[42:43] op_sel:[1,0]
	s_mov_b32 s42, s11
	s_mov_b32 s43, s3
	v_pk_fma_f32 v[184:185], v[172:173], s[24:25], v[202:203] op_sel:[1,0,0]
	v_pk_mul_f32 v[86:87], v[40:41], s[16:17]
	s_mov_b32 s16, s29
	v_pk_mul_f32 v[98:99], v[162:163], s[52:53]
	v_pk_add_f32 v[12:13], v[12:13], v[102:103]
	v_add_f32_e32 v19, v121, v19
	v_pk_mul_f32 v[124:125], v[162:163], s[46:47]
	v_pk_fma_f32 v[156:157], v[166:167], s[40:41], v[154:155]
	v_pk_fma_f32 v[192:193], v[166:167], s[40:41], v[154:155] neg_lo:[0,0,1] neg_hi:[0,0,1]
	v_pk_fma_f32 v[2:3], v[104:105], s[42:43], v[198:199] op_sel_hi:[0,1,1]
	v_pk_mul_f32 v[196:197], v[164:165], s[44:45] op_sel:[1,0]
	s_mov_b32 s44, s48
	s_mov_b32 s45, s2
	v_pk_add_f32 v[184:185], v[0:1], v[184:185] op_sel:[1,0]
	v_pk_fma_f32 v[52:53], v[158:159], s[8:9], v[58:59] neg_lo:[0,0,1] neg_hi:[0,0,1]
	v_pk_fma_f32 v[96:97], v[112:113], s[16:17], v[98:99]
	v_pk_fma_f32 v[108:109], v[112:113], s[16:17], v[98:99] neg_lo:[0,0,1] neg_hi:[0,0,1]
	v_pk_add_f32 v[12:13], v[70:71], v[12:13]
	v_add_f32_e32 v216, v120, v19
	v_pk_fma_f32 v[120:121], v[112:113], s[36:37], v[124:125]
	v_pk_fma_f32 v[70:71], v[112:113], s[36:37], v[124:125] neg_lo:[0,0,1] neg_hi:[0,0,1]
	v_mov_b32_e32 v193, v157
	v_pk_fma_f32 v[164:165], v[106:107], s[44:45], v[196:197] op_sel_hi:[0,1,1]
	s_mov_b32 s3, s17
	v_pk_add_f32 v[2:3], v[2:3], v[184:185]
	v_pk_add_f32 v[144:145], v[36:37], v[22:23] neg_lo:[0,1] neg_hi:[0,1]
	v_mov_b32_e32 v177, v179
	v_pk_add_f32 v[182:183], v[78:79], v[84:85] op_sel:[1,1]
	v_add_f32_e32 v17, v53, v17
	v_mov_b32_e32 v109, v97
	v_pk_mul_f32 v[102:103], v[168:169], s[46:47]
	v_mov_b32_e32 v71, v121
	v_pk_fma_f32 v[130:131], v[114:115], s[38:39], v[128:129]
	v_pk_fma_f32 v[148:149], v[114:115], s[38:39], v[128:129] neg_lo:[0,0,1] neg_hi:[0,0,1]
	v_pk_mul_f32 v[134:135], v[174:175], s[48:49]
	v_pk_add_f32 v[192:193], v[0:1], v[192:193]
	v_pk_fma_f32 v[170:171], v[136:137], s[2:3], v[200:201] op_sel_hi:[0,1,1]
	s_mov_b32 s21, s50
	v_pk_add_f32 v[2:3], v[164:165], v[2:3]
	s_mov_b32 s58, s9
	s_mov_b32 s59, s30
	v_mov_b32_e32 v147, v144
	v_pk_add_f32 v[108:109], v[108:109], v[100:101]
	v_add_f32_e32 v17, v52, v17
	v_pk_fma_f32 v[100:101], v[114:115], s[36:37], v[102:103]
	v_pk_fma_f32 v[52:53], v[114:115], s[36:37], v[102:103] neg_lo:[0,0,1] neg_hi:[0,0,1]
	v_mov_b32_e32 v149, v131
	v_pk_fma_f32 v[132:133], v[142:143], s[6:7], v[134:135]
	v_pk_fma_f32 v[150:151], v[142:143], s[6:7], v[134:135] neg_lo:[0,0,1] neg_hi:[0,0,1]
	v_pk_mul_f32 v[140:141], v[176:177], s[54:55]
	v_pk_add_f32 v[70:71], v[70:71], v[192:193]
	v_pk_fma_f32 v[178:179], v[144:145], s[20:21], v[204:205] op_sel_hi:[0,1,1]
	v_pk_add_f32 v[2:3], v[170:171], v[2:3]
	v_pk_mul_f32 v[208:209], v[182:183], s[58:59] op_sel:[1,0]
	s_mov_b32 s19, s46
	v_mov_b32_e32 v53, v101
	v_mov_b32_e32 v151, v133
	v_pk_fma_f32 v[138:139], v[146:147], s[26:27], v[140:141]
	v_pk_fma_f32 v[190:191], v[146:147], s[26:27], v[140:141] neg_lo:[0,0,1] neg_hi:[0,0,1]
	v_pk_add_f32 v[70:71], v[148:149], v[70:71]
	v_pk_add_f32 v[2:3], v[178:179], v[2:3]
	v_pk_fma_f32 v[164:165], v[160:161], s[18:19], v[208:209] op_sel:[1,0,0]
	v_pk_mul_f32 v[194:195], v[188:189], s[50:51]
	v_pk_add_f32 v[52:53], v[52:53], v[108:109]
	v_pk_mul_f32 v[108:109], v[174:175], s[34:35]
	s_mov_b32 s34, s8
	s_mov_b32 s35, s56
	v_mov_b32_e32 v191, v139
	v_pk_add_f32 v[70:71], v[150:151], v[70:71]
	v_pk_add_f32 v[2:3], v[164:165], v[2:3]
	v_pk_mul_f32 v[164:165], v[162:163], s[56:57]
	v_pk_fma_f32 v[188:189], v[166:167], s[14:15], v[194:195] neg_lo:[0,0,1] neg_hi:[0,0,1]
	v_pk_fma_f32 v[192:193], v[166:167], s[14:15], v[194:195]
	s_mov_b32 s10, s13
	v_pk_add_f32 v[70:71], v[190:191], v[70:71]
	v_pk_fma_f32 v[190:191], v[112:113], s[34:35], v[164:165] neg_lo:[0,0,1] neg_hi:[0,0,1]
	v_pk_fma_f32 v[162:163], v[112:113], s[34:35], v[164:165]
	v_pk_mul_f32 v[170:171], v[168:169], s[54:55]
	s_mov_b32 s46, s20
	v_mov_b32_e32 v189, v193
	v_pk_fma_f32 v[118:119], v[186:187], s[28:29], v[86:87] neg_lo:[0,0,1] neg_hi:[0,0,1]
	v_pk_fma_f32 v[110:111], v[142:143], s[10:11], v[108:109]
	v_pk_fma_f32 v[54:55], v[142:143], s[10:11], v[108:109] neg_lo:[0,0,1] neg_hi:[0,0,1]
	v_mov_b32_e32 v191, v163
	v_pk_fma_f32 v[210:211], v[114:115], s[26:27], v[170:171] neg_lo:[0,0,1] neg_hi:[0,0,1]
	v_pk_fma_f32 v[168:169], v[114:115], s[26:27], v[170:171]
	v_pk_mul_f32 v[174:175], v[174:175], s[46:47]
	s_mov_b32 s46, s30
	s_mov_b32 s47, s20
	v_pk_add_f32 v[188:189], v[0:1], v[188:189]
	v_pk_mul_f32 v[40:41], v[176:177], s[52:53]
	v_pk_add_f32 v[180:181], v[78:79], v[84:85] op_sel:[1,1] neg_lo:[0,1] neg_hi:[0,1]
	v_add_f32_e32 v17, v119, v17
	v_mov_b32_e32 v55, v111
	v_pk_add_f32 v[12:13], v[116:117], v[12:13]
	v_pk_mul_f32 v[116:117], v[176:177], s[56:57]
	v_mov_b32_e32 v211, v169
	v_pk_fma_f32 v[212:213], v[142:143], s[46:47], v[174:175] neg_lo:[0,0,1] neg_hi:[0,0,1]
	v_pk_fma_f32 v[178:179], v[142:143], s[46:47], v[174:175]
	v_pk_mul_f32 v[184:185], v[176:177], s[48:49]
	v_pk_add_f32 v[188:189], v[190:191], v[188:189]
	v_pk_fma_f32 v[122:123], v[146:147], s[16:17], v[40:41] neg_lo:[0,0,1] neg_hi:[0,0,1]
	v_pk_fma_f32 v[42:43], v[146:147], s[16:17], v[40:41]
	v_mov_b32_e32 v181, v183
	v_pk_add_f32 v[52:53], v[54:55], v[52:53]
	v_add_f32_e32 v39, v118, v17
	v_pk_fma_f32 v[118:119], v[146:147], s[34:35], v[116:117]
	v_pk_fma_f32 v[54:55], v[146:147], s[34:35], v[116:117] neg_lo:[0,0,1] neg_hi:[0,0,1]
	v_mov_b32_e32 v213, v179
	v_pk_fma_f32 v[176:177], v[146:147], s[6:7], v[184:185] neg_lo:[0,0,1] neg_hi:[0,0,1]
	v_pk_fma_f32 v[182:183], v[146:147], s[6:7], v[184:185]
	v_pk_add_f32 v[188:189], v[210:211], v[188:189]
	v_mov_b32_e32 v123, v43
	v_mov_b32_e32 v153, v161
	v_mul_f32_e32 v72, 0xbe750f2a, v180
	v_mov_b32_e32 v55, v119
	v_pk_mul_f32 v[126:127], v[180:181], s[48:49]
	v_pk_mul_f32 v[150:151], v[180:181], s[50:51]
	v_mul_f32_e32 v74, 0x3f52af12, v180
	v_mov_b32_e32 v177, v183
	v_pk_add_f32 v[188:189], v[212:213], v[188:189]
	v_pk_mul_f32 v[190:191], v[180:181], s[52:53]
	v_pk_mul_f32 v[180:181], v[180:181], s[56:57]
	v_pk_add_f32 v[52:53], v[54:55], v[52:53]
	v_pk_add_f32 v[12:13], v[122:123], v[12:13]
	v_pk_fma_f32 v[122:123], v[152:153], s[6:7], v[126:127]
	v_pk_fma_f32 v[54:55], v[152:153], s[6:7], v[126:127] neg_lo:[0,0,1] neg_hi:[0,0,1]
	v_pk_fma_f32 v[148:149], v[152:153], s[14:15], v[150:151]
	v_pk_fma_f32 v[206:207], v[152:153], s[14:15], v[150:151] neg_lo:[0,0,1] neg_hi:[0,0,1]
	v_pk_add_f32 v[210:211], v[176:177], v[188:189]
	v_pk_fma_f32 v[214:215], v[152:153], s[16:17], v[190:191] neg_lo:[0,0,1] neg_hi:[0,0,1]
	v_pk_fma_f32 v[188:189], v[152:153], s[16:17], v[190:191]
	v_pk_fma_f32 v[212:213], v[152:153], s[34:35], v[180:181] neg_lo:[0,0,1] neg_hi:[0,0,1]
	v_pk_fma_f32 v[176:177], v[152:153], s[34:35], v[180:181]
	v_fma_f32 v33, v152, s30, -v72
	v_mov_b32_e32 v55, v123
	v_mov_b32_e32 v207, v149
	v_fma_f32 v217, v152, s9, -v74
	v_mov_b32_e32 v215, v189
	v_mov_b32_e32 v213, v177
	s_and_saveexec_b64 s[48:49], vcc
	s_xor_b64 s[48:49], exec, s[48:49]
; %bb.24:
                                        ; implicit-def: $vgpr72_vgpr73
                                        ; implicit-def: $vgpr74_vgpr75
                                        ; implicit-def: $vgpr6_vgpr7
                                        ; implicit-def: $vgpr10_vgpr11
                                        ; implicit-def: $vgpr0_vgpr1
                                        ; implicit-def: $vgpr31
                                        ; implicit-def: $vgpr28
                                        ; implicit-def: $vgpr38
                                        ; implicit-def: $vgpr30
                                        ; implicit-def: $vgpr32
                                        ; implicit-def: $vgpr34_vgpr35
                                        ; implicit-def: $vgpr56_vgpr57
                                        ; implicit-def: $vgpr36_vgpr37
                                        ; implicit-def: $vgpr66_vgpr67
                                        ; implicit-def: $vgpr18_vgpr19
                                        ; implicit-def: $vgpr78_vgpr79
                                        ; implicit-def: $vgpr20_vgpr21
                                        ; implicit-def: $vgpr84_vgpr85
                                        ; implicit-def: $vgpr22_vgpr23
                                        ; implicit-def: $vgpr82_vgpr83
                                        ; implicit-def: $vgpr44_vgpr45
                                        ; implicit-def: $vgpr80_vgpr81
                                        ; implicit-def: $vgpr46_vgpr47
                                        ; implicit-def: $vgpr48_vgpr49
                                        ; implicit-def: $vgpr50_vgpr51
                                        ; implicit-def: $vgpr88_vgpr89
                                        ; implicit-def: $vgpr4_vgpr5
                                        ; implicit-def: $vgpr58_vgpr59
                                        ; implicit-def: $vgpr76_vgpr77
                                        ; implicit-def: $vgpr8_vgpr9
                                        ; implicit-def: $vgpr14_vgpr15
                                        ; implicit-def: $vgpr16_vgpr17
                                        ; implicit-def: $vgpr86_vgpr87
                                        ; implicit-def: $vgpr94_vgpr95
                                        ; implicit-def: $vgpr40_vgpr41
                                        ; implicit-def: $vgpr42_vgpr43
                                        ; implicit-def: $vgpr90_vgpr91
                                        ; implicit-def: $vgpr92_vgpr93
                                        ; implicit-def: $vgpr64_vgpr65
                                        ; implicit-def: $vgpr68_vgpr69
                                        ; implicit-def: $vgpr98_vgpr99
                                        ; implicit-def: $vgpr96_vgpr97
                                        ; implicit-def: $vgpr102_vgpr103
                                        ; implicit-def: $vgpr100_vgpr101
                                        ; implicit-def: $vgpr108_vgpr109
                                        ; implicit-def: $vgpr110_vgpr111
                                        ; implicit-def: $vgpr116_vgpr117
                                        ; implicit-def: $vgpr118_vgpr119
                                        ; implicit-def: $vgpr126_vgpr127
                                        ; implicit-def: $vgpr122_vgpr123
                                        ; implicit-def: $vgpr124_vgpr125
                                        ; implicit-def: $vgpr120_vgpr121
                                        ; implicit-def: $vgpr128_vgpr129
                                        ; implicit-def: $vgpr130_vgpr131
                                        ; implicit-def: $vgpr134_vgpr135
                                        ; implicit-def: $vgpr132_vgpr133
                                        ; implicit-def: $vgpr140_vgpr141
                                        ; implicit-def: $vgpr138_vgpr139
                                        ; implicit-def: $vgpr154_vgpr155
                                        ; implicit-def: $vgpr156_vgpr157
                                        ; implicit-def: $vgpr150_vgpr151
                                        ; implicit-def: $vgpr148_vgpr149
                                        ; implicit-def: $vgpr198_vgpr199
                                        ; implicit-def: $vgpr196_vgpr197
                                        ; implicit-def: $vgpr200_vgpr201
                                        ; implicit-def: $vgpr204_vgpr205
                                        ; implicit-def: $vgpr202_vgpr203
                                        ; implicit-def: $vgpr208_vgpr209
                                        ; implicit-def: $vgpr164_vgpr165
                                        ; implicit-def: $vgpr162_vgpr163
                                        ; implicit-def: $vgpr170_vgpr171
                                        ; implicit-def: $vgpr168_vgpr169
                                        ; implicit-def: $vgpr174_vgpr175
                                        ; implicit-def: $vgpr178_vgpr179
                                        ; implicit-def: $vgpr184_vgpr185
                                        ; implicit-def: $vgpr182_vgpr183
                                        ; implicit-def: $vgpr194_vgpr195
                                        ; implicit-def: $vgpr192_vgpr193
                                        ; implicit-def: $vgpr190_vgpr191
                                        ; implicit-def: $vgpr188_vgpr189
                                        ; implicit-def: $vgpr180_vgpr181
                                        ; implicit-def: $vgpr176_vgpr177
                                        ; implicit-def: $vgpr104_vgpr105
                                        ; implicit-def: $vgpr106_vgpr107
                                        ; implicit-def: $vgpr136_vgpr137
                                        ; implicit-def: $vgpr144_vgpr145
                                        ; implicit-def: $vgpr152_vgpr153
                                        ; implicit-def: $vgpr160_vgpr161
                                        ; implicit-def: $vgpr172_vgpr173
                                        ; implicit-def: $vgpr166_vgpr167
                                        ; implicit-def: $vgpr186_vgpr187
                                        ; implicit-def: $vgpr146_vgpr147
                                        ; implicit-def: $vgpr142_vgpr143
                                        ; implicit-def: $vgpr158_vgpr159
                                        ; implicit-def: $vgpr114_vgpr115
                                        ; implicit-def: $vgpr60_vgpr61
                                        ; implicit-def: $vgpr112_vgpr113
                                        ; implicit-def: $vgpr62_vgpr63
                                        ; implicit-def: $vgpr72
                                        ; implicit-def: $vgpr7
                                        ; implicit-def: $vgpr11
                                        ; implicit-def: $vgpr74
; %bb.25:
	s_or_saveexec_b64 s[48:49], s[48:49]
	v_add_f32_e32 v66, v33, v39
	v_pk_add_f32 v[52:53], v[54:55], v[52:53]
	v_pk_add_f32 v[54:55], v[206:207], v[70:71]
	v_add_f32_e32 v56, v217, v216
	v_pk_add_f32 v[70:71], v[214:215], v[210:211]
	v_pk_add_f32 v[12:13], v[212:213], v[12:13]
	s_xor_b64 exec, exec, s[48:49]
	s_cbranch_execz .LBB0_27
; %bb.26:
	v_mul_f32_e32 v17, 0x3f62ad3f, v166
	v_pk_mul_f32 v[210:211], v[158:159], s[8:9]
	v_add_f32_e32 v7, v17, v7
	v_add_f32_e32 v7, v0, v7
	v_pk_add_f32 v[58:59], v[210:211], v[58:59]
	v_pk_mul_f32 v[216:217], v[186:187], s[28:29]
	v_pk_mul_f32 v[104:105], v[104:105], s[42:43] op_sel_hi:[0,1]
	v_pk_mul_f32 v[172:173], v[172:173], s[24:25] op_sel:[1,0]
	v_add_f32_e32 v7, v59, v7
	v_mov_b32_e32 v240, v198
	v_mov_b32_e32 v241, v202
	;; [unrolled: 1-line block ×4, first 2 shown]
	v_add_f32_e32 v7, v58, v7
	v_pk_add_f32 v[58:59], v[216:217], v[86:87]
	v_mul_f32_e32 v33, 0xbeb58ec6, v166
	v_pk_add_f32 v[240:241], v[240:241], v[242:243] neg_lo:[0,1] neg_hi:[0,1]
	v_add_f32_e32 v7, v59, v7
	v_pk_mul_f32 v[158:159], v[158:159], s[12:13]
	v_pk_mul_f32 v[106:107], v[106:107], s[44:45] op_sel_hi:[0,1]
	v_pk_mul_f32 v[136:137], v[136:137], s[2:3] op_sel_hi:[0,1]
	v_pk_add_f32 v[242:243], v[0:1], v[240:241]
	v_add_f32_e32 v11, v33, v11
	v_add_f32_e32 v58, v58, v7
	v_lshrrev_b32_e32 v7, 1, v24
	v_mov_b32_e32 v104, v243
	v_mov_b32_e32 v242, v200
	;; [unrolled: 1-line block ×5, first 2 shown]
	v_add_f32_e32 v11, v0, v11
	v_pk_add_f32 v[76:77], v[158:159], v[76:77]
	v_add_f32_e32 v39, v1, v38
	v_add_f32_e32 v38, v0, v28
	v_mul_u32_u24_e32 v7, 26, v7
	v_mov_b32_e32 v63, v30
	v_pk_mul_f32 v[186:187], v[186:187], s[30:31]
	v_pk_add_f32 v[242:243], v[242:243], v[244:245] neg_lo:[0,1] neg_hi:[0,1]
	v_add_f32_e32 v11, v77, v11
	v_mov_b32_e32 v202, v199
	v_mov_b32_e32 v172, v105
	v_or_b32_e32 v7, v7, v31
	v_pk_add_f32 v[30:31], v[38:39], v[62:63]
	v_mov_b32_e32 v61, v32
	v_mov_b32_e32 v35, v57
	v_pk_add_f32 v[240:241], v[240:241], v[104:105]
	v_mov_b32_e32 v104, v243
	v_add_f32_e32 v11, v76, v11
	v_pk_add_f32 v[76:77], v[186:187], v[94:95]
	v_pk_add_f32 v[94:95], v[202:203], v[172:173] neg_lo:[0,1] neg_hi:[0,1]
	v_pk_add_f32 v[30:31], v[30:31], v[60:61]
	v_mov_b32_e32 v37, v67
	v_pk_add_f32 v[240:241], v[104:105], v[240:241]
	v_pk_add_f32 v[104:105], v[0:1], v[94:95]
	;; [unrolled: 1-line block ×3, first 2 shown]
	v_mov_b32_e32 v19, v79
	v_mov_b32_e32 v104, v105
	;; [unrolled: 1-line block ×4, first 2 shown]
	v_pk_add_f32 v[30:31], v[30:31], v[36:37]
	v_mov_b32_e32 v21, v85
	v_pk_add_f32 v[94:95], v[94:95], v[104:105]
	v_pk_add_f32 v[104:105], v[196:197], v[106:107] neg_lo:[0,1] neg_hi:[0,1]
	v_pk_add_f32 v[18:19], v[30:31], v[18:19]
	v_mov_b32_e32 v23, v83
	v_mov_b32_e32 v106, v105
	v_pk_add_f32 v[18:19], v[18:19], v[20:21]
	v_mov_b32_e32 v45, v81
	v_pk_mul_f32 v[144:145], v[144:145], s[20:21] op_sel_hi:[0,1]
	v_pk_add_f32 v[94:95], v[106:107], v[94:95]
	v_pk_add_f32 v[18:19], v[18:19], v[22:23]
	v_pk_mul_f32 v[160:161], v[160:161], s[18:19] op_sel:[1,0]
	v_mov_b32_e32 v47, v73
	v_pk_add_f32 v[144:145], v[204:205], v[144:145] neg_lo:[0,1] neg_hi:[0,1]
	v_pk_add_f32 v[94:95], v[104:105], v[94:95]
	v_pk_add_f32 v[18:19], v[18:19], v[44:45]
	v_mul_f32_e32 v78, 0xbf788fa5, v152
	v_mov_b32_e32 v49, v75
	v_pk_add_f32 v[160:161], v[208:209], v[160:161] neg_lo:[0,1] neg_hi:[0,1]
	v_pk_add_f32 v[18:19], v[18:19], v[46:47]
	v_mov_b32_e32 v79, v145
	v_mov_b32_e32 v73, v94
	;; [unrolled: 1-line block ×3, first 2 shown]
	v_pk_add_f32 v[18:19], v[18:19], v[48:49]
	v_pk_add_f32 v[20:21], v[78:79], v[72:73]
	v_mov_b32_e32 v59, v161
	v_pk_mul_f32 v[224:225], v[112:113], s[16:17]
	v_lshl_add_u32 v28, v7, 3, 0
	v_pk_add_f32 v[18:19], v[18:19], v[50:51]
	v_pk_add_f32 v[20:21], v[20:21], v[58:59]
	v_pk_mul_f32 v[226:227], v[114:115], s[36:37]
	ds_write2_b64 v28, v[18:19], v[20:21] offset1:2
	v_pk_add_f32 v[20:21], v[98:99], v[224:225] neg_lo:[0,1] neg_hi:[0,1]
	v_pk_mul_f32 v[228:229], v[142:143], s[10:11]
	v_mov_b32_e32 v97, v21
	v_pk_add_f32 v[20:21], v[102:103], v[226:227] neg_lo:[0,1] neg_hi:[0,1]
	v_pk_mul_f32 v[230:231], v[146:147], s[34:35]
	v_mov_b32_e32 v101, v21
	;; [unrolled: 3-line block ×3, first 2 shown]
	v_pk_add_f32 v[20:21], v[116:117], v[230:231] neg_lo:[0,1] neg_hi:[0,1]
	v_pk_mul_f32 v[220:221], v[166:167], s[26:27]
	v_pk_mul_f32 v[82:83], v[166:167], s[40:41]
	v_mov_b32_e32 v119, v21
	v_pk_add_f32 v[20:21], v[126:127], v[232:233] neg_lo:[0,1] neg_hi:[0,1]
	v_pk_mul_f32 v[234:235], v[112:113], s[36:37]
	v_pk_add_f32 v[18:19], v[90:91], v[220:221] neg_lo:[0,1] neg_hi:[0,1]
	v_mov_b32_e32 v123, v21
	v_pk_add_f32 v[20:21], v[154:155], v[82:83] neg_lo:[0,1] neg_hi:[0,1]
	v_pk_mul_f32 v[88:89], v[114:115], s[38:39]
	v_mov_b32_e32 v93, v19
	v_mov_b32_e32 v157, v21
	v_pk_add_f32 v[22:23], v[124:125], v[234:235] neg_lo:[0,1] neg_hi:[0,1]
	v_pk_mul_f32 v[84:85], v[142:143], s[6:7]
	v_pk_add_f32 v[18:19], v[0:1], v[92:93]
	v_pk_add_f32 v[20:21], v[0:1], v[156:157]
	v_mov_b32_e32 v121, v23
	v_pk_add_f32 v[22:23], v[128:129], v[88:89] neg_lo:[0,1] neg_hi:[0,1]
	v_pk_mul_f32 v[236:237], v[146:147], s[26:27]
	v_pk_add_f32 v[18:19], v[96:97], v[18:19]
	v_pk_add_f32 v[20:21], v[120:121], v[20:21]
	;; [unrolled: 5-line block ×3, first 2 shown]
	v_mov_b32_e32 v133, v23
	v_pk_add_f32 v[22:23], v[140:141], v[236:237] neg_lo:[0,1] neg_hi:[0,1]
	v_pk_add_f32 v[18:19], v[110:111], v[18:19]
	v_pk_add_f32 v[20:21], v[132:133], v[20:21]
	v_mov_b32_e32 v139, v23
	v_pk_add_f32 v[22:23], v[150:151], v[238:239] neg_lo:[0,1] neg_hi:[0,1]
	v_pk_add_f32 v[18:19], v[118:119], v[18:19]
	v_pk_add_f32 v[20:21], v[138:139], v[20:21]
	v_mov_b32_e32 v149, v23
	v_pk_mul_f32 v[222:223], v[166:167], s[36:37]
	v_pk_mul_f32 v[166:167], v[166:167], s[14:15]
	v_pk_add_f32 v[18:19], v[122:123], v[18:19]
	v_pk_add_f32 v[20:21], v[148:149], v[20:21]
	v_pk_mul_f32 v[206:207], v[112:113], s[6:7]
	v_pk_mul_f32 v[112:113], v[112:113], s[34:35]
	ds_write2_b64 v28, v[18:19], v[20:21] offset0:4 offset1:6
	v_pk_add_f32 v[20:21], v[194:195], v[166:167] neg_lo:[0,1] neg_hi:[0,1]
	v_pk_mul_f32 v[212:213], v[114:115], s[14:15]
	v_pk_mul_f32 v[114:115], v[114:115], s[26:27]
	v_mov_b32_e32 v193, v21
	v_pk_add_f32 v[22:23], v[164:165], v[112:113] neg_lo:[0,1] neg_hi:[0,1]
	v_pk_mul_f32 v[214:215], v[142:143], s[22:23]
	v_pk_mul_f32 v[142:143], v[142:143], s[46:47]
	v_pk_add_f32 v[20:21], v[0:1], v[192:193]
	v_mov_b32_e32 v163, v23
	v_pk_add_f32 v[22:23], v[170:171], v[114:115] neg_lo:[0,1] neg_hi:[0,1]
	v_pk_mul_f32 v[218:219], v[146:147], s[16:17]
	v_pk_mul_f32 v[146:147], v[146:147], s[6:7]
	v_pk_add_f32 v[20:21], v[162:163], v[20:21]
	v_mov_b32_e32 v169, v23
	v_pk_add_f32 v[22:23], v[174:175], v[142:143] neg_lo:[0,1] neg_hi:[0,1]
	v_pk_mul_f32 v[244:245], v[152:153], s[16:17]
	v_pk_add_f32 v[240:241], v[242:243], v[240:241]
	v_pk_add_f32 v[20:21], v[168:169], v[20:21]
	v_mov_b32_e32 v179, v23
	v_pk_add_f32 v[22:23], v[184:185], v[146:147] neg_lo:[0,1] neg_hi:[0,1]
	v_mul_f32_e32 v80, 0x3f116cb1, v152
	v_add_f32_e32 v11, v77, v11
	v_mov_b32_e32 v81, v144
	v_mov_b32_e32 v75, v240
	v_pk_add_f32 v[20:21], v[178:179], v[20:21]
	v_mov_b32_e32 v183, v23
	v_pk_add_f32 v[22:23], v[190:191], v[244:245] neg_lo:[0,1] neg_hi:[0,1]
	v_add_f32_e32 v76, v76, v11
	v_pk_add_f32 v[18:19], v[80:81], v[74:75]
	v_mov_b32_e32 v77, v160
	v_pk_add_f32 v[20:21], v[182:183], v[20:21]
	v_mov_b32_e32 v189, v23
	v_pk_add_f32 v[18:19], v[18:19], v[76:77]
	v_pk_add_f32 v[20:21], v[188:189], v[20:21]
	ds_write2_b64 v28, v[18:19], v[20:21] offset0:8 offset1:10
	v_pk_add_f32 v[18:19], v[64:65], v[222:223] neg_lo:[0,1] neg_hi:[0,1]
	v_pk_add_f32 v[4:5], v[4:5], v[206:207] neg_lo:[0,1] neg_hi:[0,1]
	v_mov_b32_e32 v69, v19
	v_pk_add_f32 v[0:1], v[0:1], v[68:69]
	v_mov_b32_e32 v7, v5
	v_pk_add_f32 v[4:5], v[8:9], v[212:213] neg_lo:[0,1] neg_hi:[0,1]
	v_pk_add_f32 v[0:1], v[6:7], v[0:1]
	v_mov_b32_e32 v11, v5
	v_pk_add_f32 v[4:5], v[14:15], v[214:215] neg_lo:[0,1] neg_hi:[0,1]
	v_pk_mul_f32 v[152:153], v[152:153], s[34:35]
	v_pk_add_f32 v[0:1], v[10:11], v[0:1]
	v_mov_b32_e32 v17, v5
	v_pk_add_f32 v[4:5], v[40:41], v[218:219] neg_lo:[0,1] neg_hi:[0,1]
	v_pk_add_f32 v[0:1], v[16:17], v[0:1]
	v_mov_b32_e32 v43, v5
	v_pk_add_f32 v[4:5], v[180:181], v[152:153] neg_lo:[0,1] neg_hi:[0,1]
	v_pk_add_f32 v[0:1], v[42:43], v[0:1]
	v_mov_b32_e32 v177, v5
	v_pk_add_f32 v[0:1], v[176:177], v[0:1]
	v_mov_b32_e32 v57, v2
	v_mov_b32_e32 v67, v3
	ds_write2_b64 v28, v[0:1], v[12:13] offset0:12 offset1:14
	ds_write2_b64 v28, v[70:71], v[56:57] offset0:16 offset1:18
	;; [unrolled: 1-line block ×3, first 2 shown]
	ds_write_b64 v28, v[66:67] offset:192
.LBB0_27:
	s_or_b64 exec, exec, s[48:49]
	s_waitcnt lgkmcnt(0)
	s_barrier
	ds_read_b64 v[4:5], v29
	ds_read_b64 v[10:11], v29 offset:2288
	ds_read_b64 v[6:7], v29 offset:4576
	;; [unrolled: 1-line block ×6, first 2 shown]
	s_movk_i32 s2, 0x68
	v_cmp_gt_u32_e32 vcc, s2, v24
	s_movk_i32 s2, 0x67
	v_cmp_lt_u32_e64 s[2:3], s2, v24
	s_and_saveexec_b64 s[6:7], s[2:3]
	s_xor_b64 s[2:3], exec, s[6:7]
	s_or_saveexec_b64 s[2:3], s[2:3]
                                        ; implicit-def: $vgpr0
	s_xor_b64 exec, exec, s[2:3]
	s_cbranch_execz .LBB0_29
; %bb.28:
	v_add_u32_e32 v0, 0x1400, v29
	ds_read2_b32 v[56:57], v0 offset0:228 offset1:229
	ds_read_b64 v[12:13], v29 offset:1456
	ds_read_b64 v[70:71], v29 offset:3744
	;; [unrolled: 1-line block ×6, first 2 shown]
	s_waitcnt lgkmcnt(6)
	v_mov_b32_e32 v2, v57
	s_waitcnt lgkmcnt(1)
	v_mov_b32_e32 v3, v67
.LBB0_29:
	s_or_b64 exec, exec, s[2:3]
	s_movk_i32 s2, 0x4f
	v_mul_lo_u16_sdwa v20, v24, s2 dst_sel:DWORD dst_unused:UNUSED_PAD src0_sel:BYTE_0 src1_sel:DWORD
	v_lshrrev_b16_e32 v43, 11, v20
	v_mul_lo_u16_e32 v20, 26, v43
	v_sub_u16_e32 v45, v24, v20
	v_mov_b32_e32 v20, 6
	v_mul_u32_u24_sdwa v20, v45, v20 dst_sel:DWORD dst_unused:UNUSED_PAD src0_sel:BYTE_0 src1_sel:DWORD
	v_lshlrev_b32_e32 v28, 3, v20
	global_load_dwordx4 v[20:23], v28, s[4:5] offset:208
	global_load_dwordx4 v[30:33], v28, s[4:5] offset:192
	;; [unrolled: 1-line block ×3, first 2 shown]
	s_waitcnt lgkmcnt(3)
	v_mov_b32_e32 v38, v19
	v_mov_b32_e32 v39, v18
	s_waitcnt lgkmcnt(2)
	v_mov_b32_e32 v40, v17
	v_mov_b32_e32 v17, 3
	;; [unrolled: 1-line block ×3, first 2 shown]
	v_mul_u32_u24_e32 v19, 0x5b0, v43
	v_lshlrev_b32_sdwa v17, v17, v45 dst_sel:DWORD dst_unused:UNUSED_PAD src0_sel:DWORD src1_sel:BYTE_0
	v_mov_b32_e32 v28, v11
	v_mov_b32_e32 v42, v7
	s_waitcnt lgkmcnt(1)
	v_mov_b32_e32 v44, v15
	s_waitcnt lgkmcnt(0)
	v_mov_b32_e32 v46, v9
	v_add3_u32 v47, 0, v19, v17
	s_mov_b32 s6, 0x3f08b237
	s_mov_b32 s14, 0x3d64c772
	;; [unrolled: 1-line block ×10, first 2 shown]
	s_barrier
	s_mov_b32 s10, 0xbf5ff5aa
	s_mov_b32 s12, 0x3f3bfb3b
	s_waitcnt vmcnt(2)
	v_pk_mul_f32 v[50:51], v[20:21], v[38:39]
	v_mov_b32_e32 v48, v21
	v_mov_b32_e32 v50, v23
	v_pk_mul_f32 v[58:59], v[22:23], v[40:41]
	s_waitcnt vmcnt(1)
	v_pk_mul_f32 v[60:61], v[30:31], v[10:11] op_sel_hi:[1,0]
	v_pk_mul_f32 v[62:63], v[32:33], v[6:7] op_sel_hi:[1,0]
	s_waitcnt vmcnt(0)
	v_pk_mul_f32 v[64:65], v[34:35], v[14:15] op_sel_hi:[1,0]
	v_pk_mul_f32 v[68:69], v[36:37], v[8:9] op_sel_hi:[1,0]
	;; [unrolled: 1-line block ×4, first 2 shown]
	v_pk_mul_f32 v[48:49], v[48:49], v[38:39]
	v_mov_b32_e32 v58, v51
	v_pk_mul_f32 v[50:51], v[50:51], v[40:41]
	v_pk_fma_f32 v[74:75], v[30:31], v[28:29], v[60:61] op_sel:[0,0,1] op_sel_hi:[1,1,0] neg_lo:[0,0,1] neg_hi:[0,0,1]
	v_pk_fma_f32 v[10:11], v[30:31], v[10:11], v[60:61] op_sel:[0,1,1] op_sel_hi:[1,1,0]
	v_pk_fma_f32 v[30:31], v[32:33], v[42:43], v[62:63] op_sel:[0,0,1] op_sel_hi:[1,1,0] neg_lo:[0,0,1] neg_hi:[0,0,1]
	v_pk_fma_f32 v[6:7], v[32:33], v[6:7], v[62:63] op_sel:[0,1,1] op_sel_hi:[1,1,0]
	;; [unrolled: 2-line block ×4, first 2 shown]
	v_mov_b32_e32 v72, v59
	v_mov_b32_e32 v75, v11
	v_mov_b32_e32 v31, v7
	v_mov_b32_e32 v33, v15
	v_mov_b32_e32 v35, v9
	v_mov_b32_e32 v17, v74
	v_mov_b32_e32 v51, v34
	v_mov_b32_e32 v19, v30
	v_mov_b32_e32 v49, v32
	v_pk_fma_f32 v[20:21], v[20:21], v[38:39], v[58:59] neg_lo:[0,0,1] neg_hi:[0,0,1]
	v_pk_fma_f32 v[22:23], v[22:23], v[40:41], v[72:73] neg_lo:[0,0,1] neg_hi:[0,0,1]
	v_pk_add_f32 v[6:7], v[74:75], v[34:35]
	v_pk_add_f32 v[10:11], v[30:31], v[32:33]
	;; [unrolled: 1-line block ×4, first 2 shown]
	v_pk_add_f32 v[14:15], v[30:31], v[32:33] neg_lo:[0,1] neg_hi:[0,1]
	v_mov_b32_e32 v31, v20
	v_mov_b32_e32 v33, v22
	;; [unrolled: 1-line block ×6, first 2 shown]
	v_pk_add_f32 v[8:9], v[74:75], v[34:35] neg_lo:[0,1] neg_hi:[0,1]
	v_pk_add_f32 v[42:43], v[18:19], v[16:17]
	v_pk_add_f32 v[20:21], v[22:23], v[20:21] neg_lo:[0,1] neg_hi:[0,1]
	v_pk_add_f32 v[22:23], v[30:31], v[32:33]
	v_mov_b32_e32 v35, v9
	v_mov_b32_e32 v36, v14
	;; [unrolled: 1-line block ×11, first 2 shown]
	v_pk_add_f32 v[30:31], v[34:35], v[36:37] neg_lo:[0,1] neg_hi:[0,1]
	v_pk_add_f32 v[32:33], v[38:39], v[40:41] neg_lo:[0,1] neg_hi:[0,1]
	v_pk_add_f32 v[34:35], v[16:17], v[44:45] neg_lo:[0,1] neg_hi:[0,1]
	v_mov_b32_e32 v38, v7
	v_mov_b32_e32 v39, v23
	;; [unrolled: 1-line block ×3, first 2 shown]
	v_pk_add_f32 v[22:23], v[22:23], v[42:43]
	v_pk_add_f32 v[20:21], v[20:21], v[14:15]
	v_pk_mul_f32 v[30:31], v[30:31], s[6:7]
	v_pk_add_f32 v[38:39], v[38:39], v[18:19] neg_lo:[0,1] neg_hi:[0,1]
	v_pk_add_f32 v[4:5], v[22:23], v[4:5]
	v_pk_mul_f32 v[34:35], v[34:35], s[14:15]
	v_pk_add_f32 v[20:21], v[20:21], v[8:9]
	v_pk_mul_f32 v[36:37], v[32:33], s[8:9]
	v_pk_mul_f32 v[40:41], v[38:39], s[18:19]
	v_pk_fma_f32 v[22:23], v[22:23], s[16:17], v[4:5] op_sel_hi:[1,0,1]
	v_pk_fma_f32 v[38:39], v[38:39], s[18:19], v[34:35]
	v_pk_fma_f32 v[32:33], v[32:33], s[8:9], v[30:31]
	v_pk_add_f32 v[38:39], v[38:39], v[22:23]
	v_pk_fma_f32 v[32:33], v[20:21], s[2:3], v[32:33] op_sel_hi:[1,0,1]
	v_mov_b32_e32 v18, v11
	v_pk_add_f32 v[42:43], v[38:39], v[32:33]
	v_pk_add_f32 v[32:33], v[38:39], v[32:33] neg_lo:[0,1] neg_hi:[0,1]
	v_mov_b32_e32 v38, v42
	v_mov_b32_e32 v39, v33
	;; [unrolled: 1-line block ×3, first 2 shown]
	ds_write2_b64 v47, v[4:5], v[38:39] offset1:26
	v_pk_add_f32 v[4:5], v[14:15], v[8:9] neg_lo:[0,1] neg_hi:[0,1]
	v_pk_add_f32 v[6:7], v[18:19], v[16:17] neg_lo:[0,1] neg_hi:[0,1]
	v_mov_b32_e32 v8, v40
	v_mov_b32_e32 v9, v35
	;; [unrolled: 1-line block ×6, first 2 shown]
	v_pk_fma_f32 v[8:9], v[6:7], s[12:13], v[8:9] op_sel_hi:[1,0,1] neg_lo:[1,0,1] neg_hi:[1,0,1]
	v_pk_fma_f32 v[10:11], v[4:5], s[10:11], v[10:11] op_sel_hi:[1,0,1] neg_lo:[1,0,1] neg_hi:[1,0,1]
	;; [unrolled: 1-line block ×4, first 2 shown]
	v_pk_add_f32 v[8:9], v[8:9], v[22:23]
	v_pk_fma_f32 v[10:11], v[20:21], s[2:3], v[10:11] op_sel_hi:[1,0,1]
	v_pk_add_f32 v[6:7], v[6:7], v[22:23]
	v_pk_fma_f32 v[4:5], v[20:21], s[2:3], v[4:5] op_sel_hi:[1,0,1]
	v_pk_add_f32 v[14:15], v[8:9], v[10:11]
	v_pk_add_f32 v[8:9], v[8:9], v[10:11] neg_lo:[0,1] neg_hi:[0,1]
	v_pk_add_f32 v[16:17], v[6:7], v[4:5] neg_lo:[0,1] neg_hi:[0,1]
	v_pk_add_f32 v[4:5], v[6:7], v[4:5]
	v_mov_b32_e32 v10, v14
	v_mov_b32_e32 v11, v9
	;; [unrolled: 1-line block ×7, first 2 shown]
	ds_write2_b64 v47, v[10:11], v[6:7] offset0:52 offset1:78
	ds_write2_b64 v47, v[4:5], v[8:9] offset0:104 offset1:130
	ds_write_b64 v47, v[32:33] offset:1248
	s_and_saveexec_b64 s[20:21], vcc
	s_cbranch_execz .LBB0_31
; %bb.30:
	s_movk_i32 s3, 0x4ec5
	v_mul_u32_u24_sdwa v4, v25, s3 dst_sel:DWORD dst_unused:UNUSED_PAD src0_sel:WORD_0 src1_sel:DWORD
	v_lshrrev_b32_e32 v19, 19, v4
	v_mul_lo_u16_e32 v4, 26, v19
	v_sub_u16_e32 v21, v25, v4
	v_mul_u32_u24_e32 v4, 6, v21
	v_lshlrev_b32_e32 v18, 3, v4
	global_load_dwordx4 v[4:7], v18, s[4:5] offset:208
	global_load_dwordx4 v[8:11], v18, s[4:5] offset:192
	;; [unrolled: 1-line block ×3, first 2 shown]
	v_mul_lo_u16_e32 v19, 0xb6, v19
	v_mov_b32_e32 v18, v71
	v_mov_b32_e32 v20, v71
	v_mov_b32_e32 v22, v1
	v_mov_b32_e32 v28, v53
	v_mov_b32_e32 v30, v55
	v_lshlrev_b32_e32 v19, 3, v19
	v_lshlrev_b32_e32 v21, 3, v21
	v_add3_u32 v25, 0, v21, v19
	s_waitcnt vmcnt(2)
	v_mov_b32_e32 v32, v7
	v_mov_b32_e32 v33, v6
	s_waitcnt vmcnt(1)
	v_pk_mul_f32 v[34:35], v[70:71], v[8:9] op_sel_hi:[0,1]
	s_waitcnt vmcnt(0)
	v_pk_mul_f32 v[0:1], v[0:1], v[16:17] op_sel_hi:[0,1]
	v_pk_mul_f32 v[38:39], v[56:57], v[10:11] op_sel_hi:[0,1]
	;; [unrolled: 1-line block ×3, first 2 shown]
	v_pk_mul_f32 v[42:43], v[54:55], v[4:5] op_sel:[0,1] op_sel_hi:[1,0]
	v_pk_mul_f32 v[6:7], v[52:53], v[6:7]
	v_pk_mul_f32 v[36:37], v[54:55], v[4:5]
	v_pk_mul_f32 v[30:31], v[30:31], v[4:5] op_sel:[0,1] op_sel_hi:[1,0]
	v_pk_mul_f32 v[44:45], v[28:29], v[32:33]
	v_mov_b32_e32 v28, v43
	v_pk_mul_f32 v[42:43], v[52:53], v[32:33]
	v_pk_fma_f32 v[46:47], v[22:23], v[16:17], v[0:1] op_sel:[0,0,1] op_sel_hi:[0,1,0] neg_lo:[0,0,1] neg_hi:[0,0,1]
	v_pk_fma_f32 v[0:1], v[22:23], v[16:17], v[0:1] op_sel:[0,0,1] op_sel_hi:[0,1,0]
	v_pk_fma_f32 v[16:17], v[18:19], v[8:9], v[34:35] op_sel:[0,0,1] op_sel_hi:[1,1,0] neg_lo:[0,0,1] neg_hi:[0,0,1]
	v_pk_fma_f32 v[8:9], v[20:21], v[8:9], v[34:35] op_sel:[0,0,1] op_sel_hi:[0,1,0]
	v_pk_fma_f32 v[18:19], v[2:3], v[14:15], v[40:41] op_sel:[1,0,1] op_sel_hi:[1,1,0] neg_lo:[0,0,1] neg_hi:[0,0,1]
	v_pk_fma_f32 v[14:15], v[2:3], v[14:15], v[40:41] op_sel:[1,0,1] op_sel_hi:[1,1,0]
	v_pk_fma_f32 v[20:21], v[2:3], v[10:11], v[38:39] op_sel:[0,0,1] op_sel_hi:[1,1,0] neg_lo:[0,0,1] neg_hi:[0,0,1]
	v_pk_fma_f32 v[2:3], v[2:3], v[10:11], v[38:39] op_sel:[0,0,1] op_sel_hi:[0,1,0]
	v_mov_b32_e32 v0, v43
	v_mov_b32_e32 v47, v1
	;; [unrolled: 1-line block ×9, first 2 shown]
	v_pk_fma_f32 v[4:5], v[54:55], v[4:5], v[28:29] op_sel:[0,1,0] op_sel_hi:[1,0,1] neg_lo:[1,0,0] neg_hi:[1,0,0]
	v_pk_fma_f32 v[0:1], v[52:53], v[32:33], v[0:1] neg_lo:[1,0,0] neg_hi:[1,0,0]
	v_pk_add_f32 v[2:3], v[16:17], v[46:47]
	v_pk_add_f32 v[8:9], v[20:21], v[18:19]
	v_pk_add_f32 v[10:11], v[16:17], v[46:47] neg_lo:[0,1] neg_hi:[0,1]
	v_pk_add_f32 v[6:7], v[6:7], v[44:45]
	v_pk_add_f32 v[16:17], v[36:37], v[30:31]
	v_pk_add_f32 v[14:15], v[20:21], v[18:19] neg_lo:[0,1] neg_hi:[0,1]
	v_mov_b32_e32 v19, v4
	v_mov_b32_e32 v1, v6
	;; [unrolled: 1-line block ×6, first 2 shown]
	v_pk_add_f32 v[34:35], v[16:17], v[6:7]
	v_pk_add_f32 v[0:1], v[0:1], v[4:5] neg_lo:[0,1] neg_hi:[0,1]
	v_pk_add_f32 v[4:5], v[18:19], v[32:33]
	v_mov_b32_e32 v23, v15
	v_pk_add_f32 v[36:37], v[14:15], v[10:11] neg_lo:[0,1] neg_hi:[0,1]
	v_mov_b32_e32 v22, v0
	v_pk_add_f32 v[18:19], v[0:1], v[14:15]
	v_mov_b32_e32 v30, v0
	v_mov_b32_e32 v0, v14
	v_pk_add_f32 v[14:15], v[4:5], v[34:35]
	v_mov_b32_e32 v4, v3
	v_mov_b32_e32 v35, v17
	;; [unrolled: 1-line block ×4, first 2 shown]
	v_pk_add_f32 v[10:11], v[18:19], v[10:11]
	v_pk_add_f32 v[18:19], v[4:5], v[34:35] neg_lo:[0,1] neg_hi:[0,1]
	v_mov_b32_e32 v35, v7
	v_mov_b32_e32 v4, v9
	;; [unrolled: 1-line block ×3, first 2 shown]
	v_pk_add_f32 v[0:1], v[30:31], v[0:1] neg_lo:[0,1] neg_hi:[0,1]
	v_pk_add_f32 v[4:5], v[34:35], v[4:5] neg_lo:[0,1] neg_hi:[0,1]
	;; [unrolled: 1-line block ×3, first 2 shown]
	v_pk_add_f32 v[12:13], v[12:13], v[14:15]
	v_pk_mul_f32 v[0:1], v[0:1], s[6:7]
	v_pk_mul_f32 v[4:5], v[4:5], s[14:15]
	v_pk_mul_f32 v[22:23], v[20:21], s[8:9]
	v_pk_mul_f32 v[30:31], v[18:19], s[18:19]
	v_pk_fma_f32 v[14:15], v[14:15], s[16:17], v[12:13] op_sel_hi:[1,0,1]
	v_pk_fma_f32 v[20:21], v[20:21], s[8:9], v[0:1]
	v_pk_fma_f32 v[18:19], v[18:19], s[18:19], v[4:5]
	v_pk_fma_f32 v[20:21], v[10:11], s[2:3], v[20:21] op_sel_hi:[1,0,1]
	v_pk_add_f32 v[18:19], v[18:19], v[14:15]
	v_mov_b32_e32 v16, v9
	v_pk_add_f32 v[34:35], v[18:19], v[20:21]
	v_pk_add_f32 v[18:19], v[18:19], v[20:21] neg_lo:[0,1] neg_hi:[0,1]
	v_mov_b32_e32 v6, v3
	v_mov_b32_e32 v32, v22
	;; [unrolled: 1-line block ×5, first 2 shown]
	v_pk_add_f32 v[2:3], v[16:17], v[6:7] neg_lo:[0,1] neg_hi:[0,1]
	v_mov_b32_e32 v6, v30
	v_mov_b32_e32 v7, v5
	;; [unrolled: 1-line block ×4, first 2 shown]
	ds_write2_b64 v25, v[12:13], v[20:21] offset1:26
	v_pk_fma_f32 v[12:13], v[36:37], s[10:11], v[32:33] op_sel_hi:[1,0,1] neg_lo:[1,0,1] neg_hi:[1,0,1]
	v_pk_fma_f32 v[6:7], v[2:3], s[12:13], v[6:7] op_sel_hi:[1,0,1] neg_lo:[1,0,1] neg_hi:[1,0,1]
	;; [unrolled: 1-line block ×4, first 2 shown]
	v_pk_fma_f32 v[12:13], v[10:11], s[2:3], v[12:13] op_sel_hi:[1,0,1]
	v_pk_add_f32 v[6:7], v[6:7], v[14:15]
	v_pk_fma_f32 v[0:1], v[10:11], s[2:3], v[0:1] op_sel_hi:[1,0,1]
	v_pk_add_f32 v[2:3], v[2:3], v[14:15]
	v_pk_add_f32 v[8:9], v[6:7], v[12:13]
	v_pk_add_f32 v[6:7], v[6:7], v[12:13] neg_lo:[0,1] neg_hi:[0,1]
	v_pk_add_f32 v[4:5], v[2:3], v[0:1] neg_lo:[0,1] neg_hi:[0,1]
	v_pk_add_f32 v[0:1], v[2:3], v[0:1]
	v_mov_b32_e32 v12, v8
	v_mov_b32_e32 v13, v7
	;; [unrolled: 1-line block ×7, first 2 shown]
	ds_write2_b64 v25, v[12:13], v[2:3] offset0:52 offset1:78
	ds_write2_b64 v25, v[0:1], v[6:7] offset0:104 offset1:130
	ds_write_b64 v25, v[18:19] offset:1248
.LBB0_31:
	s_or_b64 exec, exec, s[20:21]
	v_mul_u32_u24_e32 v0, 10, v24
	v_lshlrev_b32_e32 v0, 3, v0
	s_waitcnt lgkmcnt(0)
	s_barrier
	global_load_dwordx4 v[4:7], v0, s[4:5] offset:1440
	global_load_dwordx4 v[8:11], v0, s[4:5] offset:1456
	;; [unrolled: 1-line block ×5, first 2 shown]
	v_add_u32_e32 v25, 0xa00, v29
	ds_read2_b64 v[0:3], v29 offset1:182
	ds_read2_b64 v[30:33], v25 offset0:44 offset1:226
	v_add_u32_e32 v114, 0x1600, v29
	v_add_u32_e32 v115, 0x2000, v29
	;; [unrolled: 1-line block ×3, first 2 shown]
	ds_read_b64 v[46:47], v29 offset:14560
	ds_read2_b64 v[34:37], v114 offset0:24 offset1:206
	ds_read2_b64 v[38:41], v115 offset0:68 offset1:250
	;; [unrolled: 1-line block ×3, first 2 shown]
	s_waitcnt lgkmcnt(4)
	v_mov_b32_e32 v28, v31
	s_mov_b32 s6, 0xbf0a6770
	s_mov_b32 s2, 0x3f575c64
	;; [unrolled: 1-line block ×10, first 2 shown]
	s_waitcnt lgkmcnt(0)
	s_barrier
	s_mov_b32 s22, 0x3f7d64f0
	s_mov_b32 s24, 0x3f0a6770
	s_waitcnt vmcnt(4)
	v_mov_b32_e32 v48, v7
	v_mov_b32_e32 v49, v6
	v_pk_mul_f32 v[6:7], v[6:7], v[30:31] op_sel_hi:[1,0]
	s_waitcnt vmcnt(3)
	v_pk_mul_f32 v[50:51], v[8:9], v[32:33] op_sel:[0,1]
	v_pk_mul_f32 v[52:53], v[10:11], v[34:35] op_sel:[0,1]
	;; [unrolled: 1-line block ×3, first 2 shown]
	v_pk_fma_f32 v[68:69], v[48:49], v[28:29], v[6:7]
	v_pk_fma_f32 v[6:7], v[48:49], v[30:31], v[6:7] op_sel:[0,1,0] neg_lo:[0,0,1] neg_hi:[0,0,1]
	v_pk_fma_f32 v[30:31], v[8:9], v[32:33], v[50:51] op_sel:[0,0,1] op_sel_hi:[1,1,0]
	v_pk_fma_f32 v[8:9], v[8:9], v[32:33], v[50:51] op_sel:[0,0,1] op_sel_hi:[1,0,0] neg_lo:[1,0,0] neg_hi:[1,0,0]
	v_pk_fma_f32 v[32:33], v[10:11], v[34:35], v[52:53] op_sel:[0,0,1] op_sel_hi:[1,1,0]
	v_pk_fma_f32 v[10:11], v[10:11], v[34:35], v[52:53] op_sel:[0,0,1] op_sel_hi:[1,0,0] neg_lo:[1,0,0] neg_hi:[1,0,0]
	;; [unrolled: 2-line block ×3, first 2 shown]
	s_waitcnt vmcnt(2)
	v_pk_mul_f32 v[54:55], v[12:13], v[36:37] op_sel:[0,1]
	v_mov_b32_e32 v53, v3
	v_mov_b32_e32 v56, v15
	s_waitcnt vmcnt(0)
	v_pk_mul_f32 v[62:63], v[44:45], v[20:21] op_sel:[0,1]
	v_mov_b32_e32 v64, v23
	v_mov_b32_e32 v69, v7
	v_pk_add_f32 v[2:3], v[52:53], v[0:1]
	v_pk_fma_f32 v[34:35], v[12:13], v[36:37], v[54:55] op_sel:[0,0,1] op_sel_hi:[1,1,0]
	v_pk_fma_f32 v[12:13], v[12:13], v[36:37], v[54:55] op_sel:[0,0,1] op_sel_hi:[1,0,0] neg_lo:[1,0,0] neg_hi:[1,0,0]
	v_pk_mul_f32 v[36:37], v[38:39], v[56:57] op_sel_hi:[1,0]
	v_pk_fma_f32 v[50:51], v[44:45], v[20:21], v[62:63] op_sel:[0,0,1] op_sel_hi:[1,1,0]
	v_pk_fma_f32 v[20:21], v[44:45], v[20:21], v[62:63] op_sel:[0,0,1] op_sel_hi:[1,0,0] neg_lo:[0,0,1] neg_hi:[0,0,1]
	v_pk_mul_f32 v[44:45], v[46:47], v[64:65] op_sel_hi:[1,0]
	v_mov_b32_e32 v31, v9
	v_pk_add_f32 v[2:3], v[2:3], v[68:69]
	v_pk_mul_f32 v[58:59], v[40:41], v[16:17] op_sel:[0,1]
	v_mov_b32_e32 v60, v19
	v_mov_b32_e32 v33, v11
	;; [unrolled: 1-line block ×3, first 2 shown]
	v_pk_fma_f32 v[4:5], v[38:39], v[14:15], v[36:37] op_sel:[0,0,1] op_sel_hi:[1,1,0]
	v_pk_fma_f32 v[6:7], v[38:39], v[14:15], v[36:37] op_sel:[0,0,1] op_sel_hi:[1,0,0] neg_lo:[0,0,1] neg_hi:[0,0,1]
	v_pk_fma_f32 v[12:13], v[46:47], v[22:23], v[44:45] op_sel:[0,0,1] op_sel_hi:[1,1,0]
	v_pk_fma_f32 v[14:15], v[46:47], v[22:23], v[44:45] op_sel:[0,0,1] op_sel_hi:[1,0,0] neg_lo:[0,0,1] neg_hi:[0,0,1]
	v_pk_add_f32 v[2:3], v[2:3], v[30:31]
	v_pk_fma_f32 v[48:49], v[40:41], v[16:17], v[58:59] op_sel:[0,0,1] op_sel_hi:[1,1,0]
	v_pk_fma_f32 v[16:17], v[40:41], v[16:17], v[58:59] op_sel:[0,0,1] op_sel_hi:[1,0,0] neg_lo:[0,0,1] neg_hi:[0,0,1]
	v_pk_mul_f32 v[40:41], v[42:43], v[60:61] op_sel_hi:[1,0]
	v_mov_b32_e32 v13, v15
	v_pk_add_f32 v[2:3], v[2:3], v[32:33]
	v_mov_b32_e32 v49, v17
	v_pk_fma_f32 v[8:9], v[42:43], v[18:19], v[40:41] op_sel:[0,0,1] op_sel_hi:[1,1,0]
	v_pk_fma_f32 v[10:11], v[42:43], v[18:19], v[40:41] op_sel:[0,0,1] op_sel_hi:[1,0,0] neg_lo:[0,0,1] neg_hi:[0,0,1]
	v_mov_b32_e32 v51, v21
	v_mov_b32_e32 v5, v7
	v_pk_add_f32 v[16:17], v[52:53], v[12:13] neg_lo:[0,1] neg_hi:[0,1]
	v_pk_add_f32 v[2:3], v[2:3], v[34:35]
	v_mov_b32_e32 v9, v11
	v_pk_add_f32 v[10:11], v[68:69], v[50:51] neg_lo:[0,1] neg_hi:[0,1]
	v_pk_add_f32 v[14:15], v[52:53], v[12:13]
	v_pk_mul_f32 v[20:21], v[16:17], s[6:7] op_sel_hi:[1,0]
	v_pk_add_f32 v[2:3], v[2:3], v[4:5]
	v_pk_add_f32 v[6:7], v[68:69], v[50:51]
	v_pk_mul_f32 v[18:19], v[10:11], s[16:17] op_sel_hi:[1,0]
	v_pk_fma_f32 v[36:37], v[14:15], s[2:3], v[20:21] op_sel:[0,0,1] op_sel_hi:[1,0,0]
	v_pk_fma_f32 v[20:21], v[14:15], s[2:3], v[20:21] op_sel:[0,0,1] op_sel_hi:[1,0,0] neg_lo:[0,0,1] neg_hi:[0,0,1]
	v_pk_add_f32 v[2:3], v[2:3], v[48:49]
	v_pk_fma_f32 v[22:23], v[6:7], s[4:5], v[18:19] op_sel:[0,0,1] op_sel_hi:[1,0,0]
	v_pk_fma_f32 v[18:19], v[6:7], s[4:5], v[18:19] op_sel:[0,0,1] op_sel_hi:[1,0,0] neg_lo:[0,0,1] neg_hi:[0,0,1]
	v_mov_b32_e32 v40, v36
	v_mov_b32_e32 v41, v21
	v_pk_add_f32 v[2:3], v[2:3], v[8:9]
	v_mov_b32_e32 v38, v22
	v_mov_b32_e32 v39, v19
	v_pk_add_f32 v[40:41], v[40:41], v[0:1]
	v_pk_add_f32 v[2:3], v[2:3], v[50:51]
	v_pk_mul_f32 v[54:55], v[10:11], s[14:15] op_sel_hi:[1,0]
	v_pk_add_f32 v[2:3], v[2:3], v[12:13]
	v_pk_add_f32 v[12:13], v[38:39], v[40:41]
	;; [unrolled: 1-line block ×3, first 2 shown]
	v_pk_add_f32 v[8:9], v[30:31], v[8:9] neg_lo:[0,1] neg_hi:[0,1]
	v_pk_fma_f32 v[56:57], v[6:7], s[12:13], v[54:55] op_sel:[0,0,1] op_sel_hi:[1,0,0]
	v_pk_mul_f32 v[30:31], v[8:9], s[10:11] op_sel_hi:[1,0]
	v_pk_fma_f32 v[54:55], v[6:7], s[12:13], v[54:55] op_sel:[0,0,1] op_sel_hi:[1,0,0] neg_lo:[0,0,1] neg_hi:[0,0,1]
	v_pk_fma_f32 v[40:41], v[38:39], s[8:9], v[30:31] op_sel:[0,0,1] op_sel_hi:[1,0,0]
	v_pk_fma_f32 v[30:31], v[38:39], s[8:9], v[30:31] op_sel:[0,0,1] op_sel_hi:[1,0,0] neg_lo:[0,0,1] neg_hi:[0,0,1]
	v_mov_b32_e32 v42, v40
	v_mov_b32_e32 v43, v31
	v_pk_add_f32 v[12:13], v[42:43], v[12:13]
	v_pk_add_f32 v[42:43], v[32:33], v[48:49]
	v_pk_add_f32 v[32:33], v[32:33], v[48:49] neg_lo:[0,1] neg_hi:[0,1]
	v_mov_b32_e32 v58, v56
	v_pk_mul_f32 v[44:45], v[32:33], s[14:15] op_sel_hi:[1,0]
	v_mov_b32_e32 v59, v55
	v_pk_fma_f32 v[46:47], v[42:43], s[12:13], v[44:45] op_sel:[0,0,1] op_sel_hi:[1,0,0]
	v_pk_fma_f32 v[44:45], v[42:43], s[12:13], v[44:45] op_sel:[0,0,1] op_sel_hi:[1,0,0] neg_lo:[0,0,1] neg_hi:[0,0,1]
	v_mov_b32_e32 v48, v46
	v_mov_b32_e32 v49, v45
	v_pk_add_f32 v[12:13], v[48:49], v[12:13]
	v_pk_add_f32 v[48:49], v[34:35], v[4:5]
	v_pk_add_f32 v[4:5], v[34:35], v[4:5] neg_lo:[0,1] neg_hi:[0,1]
	v_pk_mul_f32 v[94:95], v[10:11], s[22:23] op_sel_hi:[1,0]
	v_pk_mul_f32 v[34:35], v[4:5], s[20:21] op_sel_hi:[1,0]
	v_pk_fma_f32 v[96:97], v[6:7], s[8:9], v[94:95] op_sel:[0,0,1] op_sel_hi:[1,0,0]
	v_pk_fma_f32 v[50:51], v[48:49], s[18:19], v[34:35] op_sel:[0,0,1] op_sel_hi:[1,0,0]
	v_pk_fma_f32 v[34:35], v[48:49], s[18:19], v[34:35] op_sel:[0,0,1] op_sel_hi:[1,0,0] neg_lo:[0,0,1] neg_hi:[0,0,1]
	v_mov_b32_e32 v52, v50
	v_mov_b32_e32 v53, v35
	v_pk_add_f32 v[12:13], v[52:53], v[12:13]
	ds_write2_b64 v29, v[2:3], v[12:13] offset1:182
	v_pk_mul_f32 v[2:3], v[16:17], s[16:17] op_sel_hi:[1,0]
	s_mov_b32 s16, 0x3e903f40
	v_pk_fma_f32 v[12:13], v[14:15], s[4:5], v[2:3] op_sel:[0,0,1] op_sel_hi:[1,0,0]
	v_pk_fma_f32 v[2:3], v[14:15], s[4:5], v[2:3] op_sel:[0,0,1] op_sel_hi:[1,0,0] neg_lo:[0,0,1] neg_hi:[0,0,1]
	v_mov_b32_e32 v52, v12
	v_mov_b32_e32 v53, v3
	v_pk_add_f32 v[52:53], v[52:53], v[0:1]
	v_pk_mul_f32 v[76:77], v[10:11], s[16:17] op_sel_hi:[1,0]
	v_pk_add_f32 v[52:53], v[58:59], v[52:53]
	v_pk_mul_f32 v[58:59], v[8:9], s[16:17] op_sel_hi:[1,0]
	v_pk_fma_f32 v[78:79], v[6:7], s[18:19], v[76:77] op_sel:[0,0,1] op_sel_hi:[1,0,0]
	v_pk_fma_f32 v[60:61], v[38:39], s[18:19], v[58:59] op_sel:[0,0,1] op_sel_hi:[1,0,0]
	v_pk_fma_f32 v[58:59], v[38:39], s[18:19], v[58:59] op_sel:[0,0,1] op_sel_hi:[1,0,0] neg_lo:[0,0,1] neg_hi:[0,0,1]
	v_mov_b32_e32 v62, v60
	v_mov_b32_e32 v63, v59
	v_pk_add_f32 v[52:53], v[62:63], v[52:53]
	v_pk_mul_f32 v[62:63], v[32:33], s[22:23] op_sel_hi:[1,0]
	v_pk_fma_f32 v[76:77], v[6:7], s[18:19], v[76:77] op_sel:[0,0,1] op_sel_hi:[1,0,0] neg_lo:[0,0,1] neg_hi:[0,0,1]
	v_pk_fma_f32 v[64:65], v[42:43], s[8:9], v[62:63] op_sel:[0,0,1] op_sel_hi:[1,0,0]
	v_pk_fma_f32 v[62:63], v[42:43], s[8:9], v[62:63] op_sel:[0,0,1] op_sel_hi:[1,0,0] neg_lo:[0,0,1] neg_hi:[0,0,1]
	v_mov_b32_e32 v66, v64
	v_mov_b32_e32 v67, v63
	v_pk_add_f32 v[52:53], v[66:67], v[52:53]
	v_pk_mul_f32 v[66:67], v[4:5], s[24:25] op_sel_hi:[1,0]
	v_mov_b32_e32 v80, v78
	v_pk_fma_f32 v[68:69], v[48:49], s[2:3], v[66:67] op_sel:[0,0,1] op_sel_hi:[1,0,0]
	v_pk_fma_f32 v[66:67], v[48:49], s[2:3], v[66:67] op_sel:[0,0,1] op_sel_hi:[1,0,0] neg_lo:[0,0,1] neg_hi:[0,0,1]
	v_mov_b32_e32 v70, v68
	v_mov_b32_e32 v71, v67
	v_pk_add_f32 v[52:53], v[70:71], v[52:53]
	v_pk_mul_f32 v[70:71], v[16:17], s[10:11] op_sel_hi:[1,0]
	v_mov_b32_e32 v81, v77
	v_pk_fma_f32 v[72:73], v[14:15], s[8:9], v[70:71] op_sel:[0,0,1] op_sel_hi:[1,0,0]
	v_pk_fma_f32 v[70:71], v[14:15], s[8:9], v[70:71] op_sel:[0,0,1] op_sel_hi:[1,0,0] neg_lo:[0,0,1] neg_hi:[0,0,1]
	v_mov_b32_e32 v74, v72
	v_mov_b32_e32 v75, v71
	v_pk_add_f32 v[74:75], v[74:75], v[0:1]
	s_mov_b32 s16, 0x3f68dda4
	v_pk_add_f32 v[74:75], v[80:81], v[74:75]
	v_pk_mul_f32 v[80:81], v[8:9], s[16:17] op_sel_hi:[1,0]
	v_pk_fma_f32 v[94:95], v[6:7], s[8:9], v[94:95] op_sel:[0,0,1] op_sel_hi:[1,0,0] neg_lo:[0,0,1] neg_hi:[0,0,1]
	v_pk_fma_f32 v[82:83], v[38:39], s[4:5], v[80:81] op_sel:[0,0,1] op_sel_hi:[1,0,0]
	v_pk_fma_f32 v[80:81], v[38:39], s[4:5], v[80:81] op_sel:[0,0,1] op_sel_hi:[1,0,0] neg_lo:[0,0,1] neg_hi:[0,0,1]
	v_mov_b32_e32 v84, v82
	v_mov_b32_e32 v85, v81
	v_pk_add_f32 v[74:75], v[84:85], v[74:75]
	v_pk_mul_f32 v[84:85], v[32:33], s[6:7] op_sel_hi:[1,0]
	v_mov_b32_e32 v98, v96
	v_pk_fma_f32 v[86:87], v[42:43], s[2:3], v[84:85] op_sel:[0,0,1] op_sel_hi:[1,0,0]
	v_pk_fma_f32 v[84:85], v[42:43], s[2:3], v[84:85] op_sel:[0,0,1] op_sel_hi:[1,0,0] neg_lo:[0,0,1] neg_hi:[0,0,1]
	v_mov_b32_e32 v88, v86
	v_mov_b32_e32 v89, v85
	v_pk_add_f32 v[74:75], v[88:89], v[74:75]
	v_pk_mul_f32 v[88:89], v[4:5], s[14:15] op_sel_hi:[1,0]
	v_mov_b32_e32 v99, v95
	v_pk_fma_f32 v[90:91], v[48:49], s[12:13], v[88:89] op_sel:[0,0,1] op_sel_hi:[1,0,0]
	v_pk_fma_f32 v[88:89], v[48:49], s[12:13], v[88:89] op_sel:[0,0,1] op_sel_hi:[1,0,0] neg_lo:[0,0,1] neg_hi:[0,0,1]
	v_mov_b32_e32 v92, v90
	v_mov_b32_e32 v93, v89
	v_pk_add_f32 v[74:75], v[92:93], v[74:75]
	ds_write2_b64 v25, v[52:53], v[74:75] offset0:44 offset1:226
	v_pk_mul_f32 v[52:53], v[16:17], s[14:15] op_sel_hi:[1,0]
	v_pk_mul_f32 v[16:17], v[16:17], s[20:21] op_sel_hi:[1,0]
	v_pk_fma_f32 v[74:75], v[14:15], s[12:13], v[52:53] op_sel:[0,0,1] op_sel_hi:[1,0,0]
	v_pk_fma_f32 v[52:53], v[14:15], s[12:13], v[52:53] op_sel:[0,0,1] op_sel_hi:[1,0,0] neg_lo:[0,0,1] neg_hi:[0,0,1]
	v_mov_b32_e32 v92, v74
	v_mov_b32_e32 v93, v53
	v_pk_add_f32 v[92:93], v[92:93], v[0:1]
	v_pk_mul_f32 v[10:11], v[10:11], s[24:25] op_sel_hi:[1,0]
	v_pk_add_f32 v[92:93], v[98:99], v[92:93]
	v_pk_mul_f32 v[98:99], v[8:9], s[6:7] op_sel_hi:[1,0]
	v_pk_fma_f32 v[112:113], v[6:7], s[2:3], v[10:11] op_sel:[0,0,1] op_sel_hi:[1,0,0]
	v_pk_fma_f32 v[100:101], v[38:39], s[2:3], v[98:99] op_sel:[0,0,1] op_sel_hi:[1,0,0]
	v_pk_fma_f32 v[98:99], v[38:39], s[2:3], v[98:99] op_sel:[0,0,1] op_sel_hi:[1,0,0] neg_lo:[0,0,1] neg_hi:[0,0,1]
	v_mov_b32_e32 v102, v100
	v_mov_b32_e32 v103, v99
	v_pk_add_f32 v[92:93], v[102:103], v[92:93]
	v_pk_mul_f32 v[102:103], v[32:33], s[20:21] op_sel_hi:[1,0]
	v_pk_fma_f32 v[6:7], v[6:7], s[2:3], v[10:11] op_sel:[0,0,1] op_sel_hi:[1,0,0] neg_lo:[0,0,1] neg_hi:[0,0,1]
	v_pk_fma_f32 v[104:105], v[42:43], s[18:19], v[102:103] op_sel:[0,0,1] op_sel_hi:[1,0,0]
	v_pk_fma_f32 v[102:103], v[42:43], s[18:19], v[102:103] op_sel:[0,0,1] op_sel_hi:[1,0,0] neg_lo:[0,0,1] neg_hi:[0,0,1]
	v_mov_b32_e32 v106, v104
	v_mov_b32_e32 v107, v103
	v_pk_add_f32 v[92:93], v[106:107], v[92:93]
	v_pk_mul_f32 v[106:107], v[4:5], s[16:17] op_sel_hi:[1,0]
	v_mov_b32_e32 v10, v112
	v_pk_fma_f32 v[108:109], v[48:49], s[4:5], v[106:107] op_sel:[0,0,1] op_sel_hi:[1,0,0]
	v_pk_fma_f32 v[106:107], v[48:49], s[4:5], v[106:107] op_sel:[0,0,1] op_sel_hi:[1,0,0] neg_lo:[0,0,1] neg_hi:[0,0,1]
	v_mov_b32_e32 v110, v108
	v_mov_b32_e32 v111, v107
	v_pk_add_f32 v[92:93], v[110:111], v[92:93]
	v_pk_fma_f32 v[110:111], v[14:15], s[18:19], v[16:17] op_sel:[0,0,1] op_sel_hi:[1,0,0]
	v_pk_fma_f32 v[14:15], v[14:15], s[18:19], v[16:17] op_sel:[0,0,1] op_sel_hi:[1,0,0] neg_lo:[0,0,1] neg_hi:[0,0,1]
	v_mov_b32_e32 v16, v110
	v_mov_b32_e32 v17, v15
	v_pk_add_f32 v[16:17], v[16:17], v[0:1]
	v_mov_b32_e32 v11, v7
	v_pk_mul_f32 v[8:9], v[8:9], s[14:15] op_sel_hi:[1,0]
	v_pk_add_f32 v[10:11], v[10:11], v[16:17]
	v_pk_fma_f32 v[16:17], v[38:39], s[12:13], v[8:9] op_sel:[0,0,1] op_sel_hi:[1,0,0]
	v_pk_fma_f32 v[8:9], v[38:39], s[12:13], v[8:9] op_sel:[0,0,1] op_sel_hi:[1,0,0] neg_lo:[0,0,1] neg_hi:[0,0,1]
	v_mov_b32_e32 v38, v16
	v_mov_b32_e32 v39, v9
	v_pk_mul_f32 v[32:33], v[32:33], s[16:17] op_sel_hi:[1,0]
	v_pk_add_f32 v[10:11], v[38:39], v[10:11]
	v_pk_fma_f32 v[38:39], v[42:43], s[4:5], v[32:33] op_sel:[0,0,1] op_sel_hi:[1,0,0]
	v_pk_fma_f32 v[32:33], v[42:43], s[4:5], v[32:33] op_sel:[0,0,1] op_sel_hi:[1,0,0] neg_lo:[0,0,1] neg_hi:[0,0,1]
	v_mov_b32_e32 v42, v38
	;; [unrolled: 6-line block ×3, first 2 shown]
	v_mov_b32_e32 v49, v5
	v_pk_add_f32 v[10:11], v[48:49], v[10:11]
	v_mov_b32_e32 v15, v111
	ds_write2_b64 v114, v[92:93], v[10:11] offset0:24 offset1:206
	v_pk_add_f32 v[10:11], v[14:15], v[0:1]
	v_mov_b32_e32 v7, v113
	v_pk_add_f32 v[6:7], v[6:7], v[10:11]
	v_mov_b32_e32 v9, v17
	;; [unrolled: 2-line block ×4, first 2 shown]
	v_mov_b32_e32 v53, v75
	v_pk_add_f32 v[4:5], v[4:5], v[6:7]
	v_pk_add_f32 v[6:7], v[52:53], v[0:1]
	v_mov_b32_e32 v95, v97
	v_pk_add_f32 v[6:7], v[94:95], v[6:7]
	v_mov_b32_e32 v99, v101
	v_pk_add_f32 v[6:7], v[98:99], v[6:7]
	v_mov_b32_e32 v103, v105
	v_pk_add_f32 v[6:7], v[102:103], v[6:7]
	v_mov_b32_e32 v107, v109
	v_pk_add_f32 v[6:7], v[106:107], v[6:7]
	v_mov_b32_e32 v71, v73
	v_mov_b32_e32 v3, v13
	v_mov_b32_e32 v21, v37
	ds_write2_b64 v115, v[4:5], v[6:7] offset0:68 offset1:250
	v_pk_add_f32 v[4:5], v[70:71], v[0:1]
	v_mov_b32_e32 v77, v79
	v_pk_add_f32 v[2:3], v[2:3], v[0:1]
	v_mov_b32_e32 v55, v57
	;; [unrolled: 2-line block ×12, first 2 shown]
	v_pk_add_f32 v[4:5], v[88:89], v[4:5]
	v_pk_add_f32 v[2:3], v[66:67], v[2:3]
	;; [unrolled: 1-line block ×3, first 2 shown]
	ds_write2_b64 v116, v[4:5], v[2:3] offset0:48 offset1:230
	ds_write_b64 v29, v[0:1] offset:14560
	s_waitcnt lgkmcnt(0)
	s_barrier
	s_and_saveexec_b64 s[2:3], s[0:1]
	s_cbranch_execz .LBB0_33
; %bb.32:
	v_lshl_add_u32 v8, v24, 3, 0
	ds_read2_b64 v[0:3], v8 offset1:182
	v_mov_b32_e32 v25, 0
	v_add_u32_e32 v4, 0xb6, v24
	v_lshl_add_u64 v[6:7], v[24:25], 3, v[26:27]
	v_mov_b32_e32 v5, v25
	s_waitcnt lgkmcnt(0)
	global_store_dwordx2 v[6:7], v[0:1], off
	v_lshl_add_u64 v[0:1], v[4:5], 3, v[26:27]
	v_add_u32_e32 v4, 0xa00, v8
	ds_read2_b64 v[4:7], v4 offset0:44 offset1:226
	global_store_dwordx2 v[0:1], v[2:3], off
	v_add_u32_e32 v0, 0x16c, v24
	v_mov_b32_e32 v1, v25
	v_lshl_add_u64 v[0:1], v[0:1], 3, v[26:27]
	s_waitcnt lgkmcnt(0)
	global_store_dwordx2 v[0:1], v[4:5], off
	v_add_u32_e32 v0, 0x222, v24
	v_mov_b32_e32 v1, v25
	v_lshl_add_u64 v[4:5], v[0:1], 3, v[26:27]
	v_add_u32_e32 v0, 0x1600, v8
	ds_read2_b64 v[0:3], v0 offset0:24 offset1:206
	global_store_dwordx2 v[4:5], v[6:7], off
	v_add_u32_e32 v4, 0x2d8, v24
	v_mov_b32_e32 v5, v25
	v_lshl_add_u64 v[4:5], v[4:5], 3, v[26:27]
	s_waitcnt lgkmcnt(0)
	global_store_dwordx2 v[4:5], v[0:1], off
	v_add_u32_e32 v4, 0x2000, v8
	ds_read2_b64 v[4:7], v4 offset0:68 offset1:250
	v_add_u32_e32 v0, 0x38e, v24
	v_mov_b32_e32 v1, v25
	v_lshl_add_u64 v[0:1], v[0:1], 3, v[26:27]
	global_store_dwordx2 v[0:1], v[2:3], off
	v_add_u32_e32 v0, 0x444, v24
	v_mov_b32_e32 v1, v25
	v_lshl_add_u64 v[0:1], v[0:1], 3, v[26:27]
	s_waitcnt lgkmcnt(0)
	global_store_dwordx2 v[0:1], v[4:5], off
	v_add_u32_e32 v0, 0x4fa, v24
	v_mov_b32_e32 v1, v25
	v_lshl_add_u64 v[4:5], v[0:1], 3, v[26:27]
	v_add_u32_e32 v0, 0x2c00, v8
	ds_read2_b64 v[0:3], v0 offset0:48 offset1:230
	global_store_dwordx2 v[4:5], v[6:7], off
	v_add_u32_e32 v4, 0x5b0, v24
	v_mov_b32_e32 v5, v25
	v_lshl_add_u64 v[4:5], v[4:5], 3, v[26:27]
	s_waitcnt lgkmcnt(0)
	global_store_dwordx2 v[4:5], v[0:1], off
	ds_read_b64 v[4:5], v8 offset:14560
	v_add_u32_e32 v0, 0x666, v24
	v_mov_b32_e32 v1, v25
	v_lshl_add_u64 v[0:1], v[0:1], 3, v[26:27]
	v_add_u32_e32 v24, 0x71c, v24
	global_store_dwordx2 v[0:1], v[2:3], off
	v_lshl_add_u64 v[0:1], v[24:25], 3, v[26:27]
	s_waitcnt lgkmcnt(0)
	global_store_dwordx2 v[0:1], v[4:5], off
.LBB0_33:
	s_endpgm
	.section	.rodata,"a",@progbits
	.p2align	6, 0x0
	.amdhsa_kernel fft_rtc_back_len2002_factors_2_13_7_11_wgs_182_tpt_182_halfLds_sp_ip_CI_unitstride_sbrr_C2R_dirReg
		.amdhsa_group_segment_fixed_size 0
		.amdhsa_private_segment_fixed_size 0
		.amdhsa_kernarg_size 88
		.amdhsa_user_sgpr_count 2
		.amdhsa_user_sgpr_dispatch_ptr 0
		.amdhsa_user_sgpr_queue_ptr 0
		.amdhsa_user_sgpr_kernarg_segment_ptr 1
		.amdhsa_user_sgpr_dispatch_id 0
		.amdhsa_user_sgpr_kernarg_preload_length 0
		.amdhsa_user_sgpr_kernarg_preload_offset 0
		.amdhsa_user_sgpr_private_segment_size 0
		.amdhsa_uses_dynamic_stack 0
		.amdhsa_enable_private_segment 0
		.amdhsa_system_sgpr_workgroup_id_x 1
		.amdhsa_system_sgpr_workgroup_id_y 0
		.amdhsa_system_sgpr_workgroup_id_z 0
		.amdhsa_system_sgpr_workgroup_info 0
		.amdhsa_system_vgpr_workitem_id 0
		.amdhsa_next_free_vgpr 246
		.amdhsa_next_free_sgpr 60
		.amdhsa_accum_offset 248
		.amdhsa_reserve_vcc 1
		.amdhsa_float_round_mode_32 0
		.amdhsa_float_round_mode_16_64 0
		.amdhsa_float_denorm_mode_32 3
		.amdhsa_float_denorm_mode_16_64 3
		.amdhsa_dx10_clamp 1
		.amdhsa_ieee_mode 1
		.amdhsa_fp16_overflow 0
		.amdhsa_tg_split 0
		.amdhsa_exception_fp_ieee_invalid_op 0
		.amdhsa_exception_fp_denorm_src 0
		.amdhsa_exception_fp_ieee_div_zero 0
		.amdhsa_exception_fp_ieee_overflow 0
		.amdhsa_exception_fp_ieee_underflow 0
		.amdhsa_exception_fp_ieee_inexact 0
		.amdhsa_exception_int_div_zero 0
	.end_amdhsa_kernel
	.text
.Lfunc_end0:
	.size	fft_rtc_back_len2002_factors_2_13_7_11_wgs_182_tpt_182_halfLds_sp_ip_CI_unitstride_sbrr_C2R_dirReg, .Lfunc_end0-fft_rtc_back_len2002_factors_2_13_7_11_wgs_182_tpt_182_halfLds_sp_ip_CI_unitstride_sbrr_C2R_dirReg
                                        ; -- End function
	.section	.AMDGPU.csdata,"",@progbits
; Kernel info:
; codeLenInByte = 11128
; NumSgprs: 66
; NumVgprs: 246
; NumAgprs: 0
; TotalNumVgprs: 246
; ScratchSize: 0
; MemoryBound: 0
; FloatMode: 240
; IeeeMode: 1
; LDSByteSize: 0 bytes/workgroup (compile time only)
; SGPRBlocks: 8
; VGPRBlocks: 30
; NumSGPRsForWavesPerEU: 66
; NumVGPRsForWavesPerEU: 246
; AccumOffset: 248
; Occupancy: 2
; WaveLimiterHint : 1
; COMPUTE_PGM_RSRC2:SCRATCH_EN: 0
; COMPUTE_PGM_RSRC2:USER_SGPR: 2
; COMPUTE_PGM_RSRC2:TRAP_HANDLER: 0
; COMPUTE_PGM_RSRC2:TGID_X_EN: 1
; COMPUTE_PGM_RSRC2:TGID_Y_EN: 0
; COMPUTE_PGM_RSRC2:TGID_Z_EN: 0
; COMPUTE_PGM_RSRC2:TIDIG_COMP_CNT: 0
; COMPUTE_PGM_RSRC3_GFX90A:ACCUM_OFFSET: 61
; COMPUTE_PGM_RSRC3_GFX90A:TG_SPLIT: 0
	.text
	.p2alignl 6, 3212836864
	.fill 256, 4, 3212836864
	.type	__hip_cuid_f6e44a45aac2c208,@object ; @__hip_cuid_f6e44a45aac2c208
	.section	.bss,"aw",@nobits
	.globl	__hip_cuid_f6e44a45aac2c208
__hip_cuid_f6e44a45aac2c208:
	.byte	0                               ; 0x0
	.size	__hip_cuid_f6e44a45aac2c208, 1

	.ident	"AMD clang version 19.0.0git (https://github.com/RadeonOpenCompute/llvm-project roc-6.4.0 25133 c7fe45cf4b819c5991fe208aaa96edf142730f1d)"
	.section	".note.GNU-stack","",@progbits
	.addrsig
	.addrsig_sym __hip_cuid_f6e44a45aac2c208
	.amdgpu_metadata
---
amdhsa.kernels:
  - .agpr_count:     0
    .args:
      - .actual_access:  read_only
        .address_space:  global
        .offset:         0
        .size:           8
        .value_kind:     global_buffer
      - .offset:         8
        .size:           8
        .value_kind:     by_value
      - .actual_access:  read_only
        .address_space:  global
        .offset:         16
        .size:           8
        .value_kind:     global_buffer
      - .actual_access:  read_only
        .address_space:  global
        .offset:         24
        .size:           8
        .value_kind:     global_buffer
      - .offset:         32
        .size:           8
        .value_kind:     by_value
      - .actual_access:  read_only
        .address_space:  global
        .offset:         40
        .size:           8
        .value_kind:     global_buffer
      - .actual_access:  read_only
        .address_space:  global
        .offset:         48
        .size:           8
        .value_kind:     global_buffer
      - .offset:         56
        .size:           4
        .value_kind:     by_value
      - .actual_access:  read_only
        .address_space:  global
        .offset:         64
        .size:           8
        .value_kind:     global_buffer
      - .actual_access:  read_only
        .address_space:  global
        .offset:         72
        .size:           8
        .value_kind:     global_buffer
      - .address_space:  global
        .offset:         80
        .size:           8
        .value_kind:     global_buffer
    .group_segment_fixed_size: 0
    .kernarg_segment_align: 8
    .kernarg_segment_size: 88
    .language:       OpenCL C
    .language_version:
      - 2
      - 0
    .max_flat_workgroup_size: 182
    .name:           fft_rtc_back_len2002_factors_2_13_7_11_wgs_182_tpt_182_halfLds_sp_ip_CI_unitstride_sbrr_C2R_dirReg
    .private_segment_fixed_size: 0
    .sgpr_count:     66
    .sgpr_spill_count: 0
    .symbol:         fft_rtc_back_len2002_factors_2_13_7_11_wgs_182_tpt_182_halfLds_sp_ip_CI_unitstride_sbrr_C2R_dirReg.kd
    .uniform_work_group_size: 1
    .uses_dynamic_stack: false
    .vgpr_count:     246
    .vgpr_spill_count: 0
    .wavefront_size: 64
amdhsa.target:   amdgcn-amd-amdhsa--gfx950
amdhsa.version:
  - 1
  - 2
...

	.end_amdgpu_metadata
